;; amdgpu-corpus repo=ROCm/rocFFT kind=compiled arch=gfx1201 opt=O3
	.text
	.amdgcn_target "amdgcn-amd-amdhsa--gfx1201"
	.amdhsa_code_object_version 6
	.protected	bluestein_single_back_len273_dim1_sp_op_CI_CI ; -- Begin function bluestein_single_back_len273_dim1_sp_op_CI_CI
	.globl	bluestein_single_back_len273_dim1_sp_op_CI_CI
	.p2align	8
	.type	bluestein_single_back_len273_dim1_sp_op_CI_CI,@function
bluestein_single_back_len273_dim1_sp_op_CI_CI: ; @bluestein_single_back_len273_dim1_sp_op_CI_CI
; %bb.0:
	s_load_b128 s[12:15], s[0:1], 0x28
	v_mul_u32_u24_e32 v1, 0x13b2, v0
	v_mov_b32_e32 v119, 0
	s_mov_b32 s2, exec_lo
	s_delay_alu instid0(VALU_DEP_2) | instskip(NEXT) | instid1(VALU_DEP_1)
	v_lshrrev_b32_e32 v4, 16, v1
	v_lshl_add_u32 v118, ttmp9, 2, v4
	s_wait_kmcnt 0x0
	s_delay_alu instid0(VALU_DEP_1)
	v_cmpx_gt_u64_e64 s[12:13], v[118:119]
	s_cbranch_execz .LBB0_15
; %bb.1:
	s_clause 0x1
	s_load_b128 s[4:7], s[0:1], 0x18
	s_load_b64 s[12:13], s[0:1], 0x0
	v_mul_lo_u16 v1, v4, 13
	s_delay_alu instid0(VALU_DEP_1) | instskip(NEXT) | instid1(VALU_DEP_1)
	v_sub_nc_u16 v33, v0, v1
	v_and_b32_e32 v143, 0xffff, v33
	s_delay_alu instid0(VALU_DEP_1)
	v_lshlrev_b32_e32 v80, 3, v143
	s_wait_kmcnt 0x0
	s_load_b128 s[8:11], s[4:5], 0x0
	s_clause 0x7
	global_load_b64 v[129:130], v80, s[12:13]
	global_load_b64 v[131:132], v80, s[12:13] offset:168
	global_load_b64 v[127:128], v80, s[12:13] offset:336
	;; [unrolled: 1-line block ×7, first 2 shown]
	s_wait_kmcnt 0x0
	v_mad_co_u64_u32 v[0:1], null, s10, v118, 0
	v_mad_co_u64_u32 v[2:3], null, s8, v143, 0
	s_mul_u64 s[2:3], s[8:9], 21
	s_delay_alu instid0(VALU_DEP_1) | instskip(NEXT) | instid1(VALU_DEP_2)
	v_mad_co_u64_u32 v[5:6], null, s11, v118, v[1:2]
	v_mad_co_u64_u32 v[6:7], null, s9, v143, v[3:4]
	v_and_b32_e32 v4, 3, v4
	s_load_b64 s[10:11], s[0:1], 0x38
	s_delay_alu instid0(VALU_DEP_3) | instskip(NEXT) | instid1(VALU_DEP_2)
	v_mov_b32_e32 v1, v5
	v_mul_u32_u24_e32 v68, 0x111, v4
	s_delay_alu instid0(VALU_DEP_4) | instskip(NEXT) | instid1(VALU_DEP_3)
	v_mov_b32_e32 v3, v6
	v_lshlrev_b64_e32 v[0:1], 3, v[0:1]
	s_delay_alu instid0(VALU_DEP_2) | instskip(NEXT) | instid1(VALU_DEP_2)
	v_lshlrev_b64_e32 v[5:6], 3, v[2:3]
	v_add_co_u32 v2, vcc_lo, s14, v0
	s_delay_alu instid0(VALU_DEP_3) | instskip(SKIP_1) | instid1(VALU_DEP_2)
	v_add_co_ci_u32_e32 v3, vcc_lo, s15, v1, vcc_lo
	s_lshl_b64 s[14:15], s[2:3], 3
	v_add_co_u32 v0, vcc_lo, v2, v5
	s_wait_alu 0xfffd
	s_delay_alu instid0(VALU_DEP_2)
	v_add_co_ci_u32_e32 v1, vcc_lo, v3, v6, vcc_lo
	v_add_co_u32 v104, s2, s12, v80
	s_wait_alu 0xfffe
	v_add_co_u32 v5, vcc_lo, v0, s14
	s_wait_alu 0xfffd
	v_add_co_ci_u32_e32 v6, vcc_lo, s15, v1, vcc_lo
	v_add_co_ci_u32_e64 v105, null, s13, 0, s2
	s_delay_alu instid0(VALU_DEP_3) | instskip(SKIP_1) | instid1(VALU_DEP_3)
	v_add_co_u32 v7, vcc_lo, v5, s14
	s_wait_alu 0xfffd
	v_add_co_ci_u32_e32 v8, vcc_lo, s15, v6, vcc_lo
	s_clause 0x1
	global_load_b64 v[9:10], v[0:1], off
	global_load_b64 v[5:6], v[5:6], off
	v_add_co_u32 v0, vcc_lo, v7, s14
	s_wait_alu 0xfffd
	v_add_co_ci_u32_e32 v1, vcc_lo, s15, v8, vcc_lo
	s_clause 0x2
	global_load_b64 v[106:107], v80, s[12:13] offset:1344
	global_load_b64 v[112:113], v80, s[12:13] offset:1512
	;; [unrolled: 1-line block ×3, first 2 shown]
	v_add_co_u32 v11, vcc_lo, v0, s14
	s_wait_alu 0xfffd
	v_add_co_ci_u32_e32 v12, vcc_lo, s15, v1, vcc_lo
	s_clause 0x1
	global_load_b64 v[7:8], v[7:8], off
	global_load_b64 v[13:14], v[0:1], off
	v_add_co_u32 v0, vcc_lo, v11, s14
	s_wait_alu 0xfffd
	v_add_co_ci_u32_e32 v1, vcc_lo, s15, v12, vcc_lo
	global_load_b64 v[11:12], v[11:12], off
	v_add_co_u32 v15, vcc_lo, v0, s14
	s_wait_alu 0xfffd
	v_add_co_ci_u32_e32 v16, vcc_lo, s15, v1, vcc_lo
	;; [unrolled: 4-line block ×8, first 2 shown]
	global_load_b64 v[119:120], v80, s[12:13] offset:1848
	global_load_b64 v[27:28], v[27:28], off
	global_load_b64 v[121:122], v80, s[12:13] offset:2016
	global_load_b64 v[29:30], v[0:1], off
	v_lshlrev_b32_e32 v144, 3, v68
	s_load_b128 s[4:7], s[6:7], 0x0
	v_cmp_gt_u16_e32 vcc_lo, 8, v33
	s_wait_loadcnt 0x11
	v_mul_f32_e32 v31, v10, v130
	v_mul_f32_e32 v32, v9, v130
	s_wait_loadcnt 0x10
	v_mul_f32_e32 v4, v6, v132
	v_mul_f32_e32 v34, v5, v132
	v_or_b32_e32 v142, 0xa0, v143
	v_fmac_f32_e32 v31, v9, v129
	s_delay_alu instid0(VALU_DEP_4)
	v_dual_fmac_f32 v4, v5, v131 :: v_dual_add_nc_u32 v141, v144, v80
	v_fma_f32 v32, v10, v129, -v32
	v_fma_f32 v5, v6, v131, -v34
	s_wait_loadcnt 0xc
	v_mul_f32_e32 v10, v7, v128
	s_wait_loadcnt 0xb
	v_mul_f32_e32 v9, v14, v124
	v_mul_f32_e32 v6, v8, v128
	ds_store_2addr_b64 v141, v[31:32], v[4:5] offset1:21
	s_wait_loadcnt 0xa
	v_dual_mul_f32 v5, v13, v124 :: v_dual_mul_f32 v4, v12, v126
	v_fmac_f32_e32 v9, v13, v123
	v_fmac_f32_e32 v6, v7, v127
	s_wait_loadcnt 0x9
	v_mul_f32_e32 v13, v18, v111
	v_mul_f32_e32 v31, v17, v111
	v_fma_f32 v7, v8, v127, -v10
	v_mul_f32_e32 v8, v11, v126
	v_fma_f32 v10, v14, v123, -v5
	v_dual_fmac_f32 v4, v11, v125 :: v_dual_fmac_f32 v13, v17, v110
	v_fma_f32 v14, v18, v110, -v31
	s_delay_alu instid0(VALU_DEP_4)
	v_fma_f32 v5, v12, v125, -v8
	ds_store_2addr_b64 v141, v[6:7], v[9:10] offset0:42 offset1:63
	s_wait_loadcnt 0x7
	v_dual_mul_f32 v7, v15, v115 :: v_dual_mul_f32 v8, v22, v117
	v_mul_f32_e32 v6, v16, v115
	ds_store_2addr_b64 v141, v[4:5], v[13:14] offset0:84 offset1:105
	s_wait_loadcnt 0x6
	v_dual_mul_f32 v5, v21, v117 :: v_dual_mul_f32 v4, v20, v107
	v_fmac_f32_e32 v8, v21, v116
	v_fma_f32 v7, v16, v114, -v7
	s_delay_alu instid0(VALU_DEP_3)
	v_fma_f32 v9, v22, v116, -v5
	s_wait_loadcnt 0x5
	v_dual_mul_f32 v5, v19, v107 :: v_dual_mul_f32 v10, v26, v113
	v_dual_mul_f32 v11, v25, v113 :: v_dual_fmac_f32 v6, v15, v114
	s_wait_loadcnt 0x4
	v_mul_f32_e32 v12, v24, v109
	v_mul_f32_e32 v13, v23, v109
	v_fmac_f32_e32 v4, v19, v106
	s_wait_loadcnt 0x2
	v_mul_f32_e32 v14, v28, v120
	v_mul_f32_e32 v15, v27, v120
	s_wait_loadcnt 0x0
	v_mul_f32_e32 v17, v29, v122
	v_mul_f32_e32 v16, v30, v122
	v_fma_f32 v5, v20, v106, -v5
	v_fmac_f32_e32 v10, v25, v112
	v_fma_f32 v11, v26, v112, -v11
	v_fmac_f32_e32 v12, v23, v108
	;; [unrolled: 2-line block ×4, first 2 shown]
	v_fma_f32 v17, v30, v121, -v17
	ds_store_2addr_b64 v141, v[6:7], v[8:9] offset0:126 offset1:147
	ds_store_2addr_b64 v141, v[4:5], v[10:11] offset0:168 offset1:189
	;; [unrolled: 1-line block ×3, first 2 shown]
	ds_store_b64 v141, v[16:17] offset:2016
	s_and_saveexec_b32 s3, vcc_lo
	s_cbranch_execz .LBB0_3
; %bb.2:
	v_mad_co_u64_u32 v[0:1], null, 0xfffff888, s8, v[0:1]
	s_mul_i32 s2, s9, 0xfffff888
	v_mad_co_u64_u32 v[6:7], null, s8, v142, 0
	s_wait_alu 0xfffe
	s_sub_co_i32 s2, s2, s8
	s_wait_alu 0xfffe
	s_delay_alu instid0(VALU_DEP_2) | instskip(NEXT) | instid1(VALU_DEP_3)
	v_add_nc_u32_e32 v1, s2, v1
	v_add_co_u32 v4, s2, v0, s14
	s_wait_alu 0xf1ff
	s_delay_alu instid0(VALU_DEP_2) | instskip(NEXT) | instid1(VALU_DEP_2)
	v_add_co_ci_u32_e64 v5, s2, s15, v1, s2
	v_add_co_u32 v8, s2, v4, s14
	s_wait_alu 0xf1ff
	s_delay_alu instid0(VALU_DEP_2) | instskip(NEXT) | instid1(VALU_DEP_2)
	v_add_co_ci_u32_e64 v9, s2, s15, v5, s2
	v_add_co_u32 v10, s2, v8, s14
	v_mad_co_u64_u32 v[14:15], null, s9, v142, v[7:8]
	s_wait_alu 0xf1ff
	s_delay_alu instid0(VALU_DEP_3) | instskip(NEXT) | instid1(VALU_DEP_3)
	v_add_co_ci_u32_e64 v11, s2, s15, v9, s2
	v_add_co_u32 v12, s2, v10, s14
	s_wait_alu 0xf1ff
	s_delay_alu instid0(VALU_DEP_2) | instskip(NEXT) | instid1(VALU_DEP_2)
	v_add_co_ci_u32_e64 v13, s2, s15, v11, s2
	v_add_co_u32 v15, s2, v12, s14
	v_mov_b32_e32 v7, v14
	s_wait_alu 0xf1ff
	s_delay_alu instid0(VALU_DEP_3) | instskip(NEXT) | instid1(VALU_DEP_3)
	v_add_co_ci_u32_e64 v16, s2, s15, v13, s2
	v_add_co_u32 v17, s2, v15, s14
	s_delay_alu instid0(VALU_DEP_3) | instskip(SKIP_1) | instid1(VALU_DEP_3)
	v_lshlrev_b64_e32 v[6:7], 3, v[6:7]
	s_wait_alu 0xf1ff
	v_add_co_ci_u32_e64 v18, s2, s15, v16, s2
	s_delay_alu instid0(VALU_DEP_2) | instskip(NEXT) | instid1(VALU_DEP_2)
	v_add_co_u32 v2, s2, v2, v6
	v_mad_co_u64_u32 v[19:20], null, 0x150, s8, v[17:18]
	s_wait_alu 0xf1ff
	v_add_co_ci_u32_e64 v3, s2, v3, v7, s2
	s_delay_alu instid0(VALU_DEP_2)
	v_mov_b32_e32 v14, v20
	global_load_b64 v[0:1], v[0:1], off
	global_load_b64 v[4:5], v[4:5], off
	s_clause 0x3
	global_load_b64 v[21:22], v[104:105], off offset:104
	global_load_b64 v[23:24], v[104:105], off offset:272
	;; [unrolled: 1-line block ×4, first 2 shown]
	global_load_b64 v[8:9], v[8:9], off
	global_load_b64 v[10:11], v[10:11], off
	v_mad_co_u64_u32 v[6:7], null, 0x150, s9, v[14:15]
	s_clause 0x3
	global_load_b64 v[29:30], v[104:105], off offset:776
	global_load_b64 v[31:32], v[104:105], off offset:944
	;; [unrolled: 1-line block ×4, first 2 shown]
	global_load_b64 v[12:13], v[12:13], off
	global_load_b64 v[2:3], v[2:3], off
	s_clause 0x2
	global_load_b64 v[37:38], v[104:105], off offset:1448
	global_load_b64 v[39:40], v[104:105], off offset:1616
	;; [unrolled: 1-line block ×3, first 2 shown]
	global_load_b64 v[14:15], v[15:16], off
	v_add_co_u32 v16, s2, v19, s14
	v_mov_b32_e32 v20, v6
	global_load_b64 v[6:7], v[17:18], off
	s_wait_alu 0xf1ff
	v_add_co_ci_u32_e64 v17, s2, s15, v20, s2
	v_add_co_u32 v43, s2, v16, s14
	global_load_b64 v[18:19], v[19:20], off
	s_wait_alu 0xf1ff
	v_add_co_ci_u32_e64 v44, s2, s15, v17, s2
	global_load_b64 v[16:17], v[16:17], off
	v_add_co_u32 v45, s2, v43, s14
	s_wait_alu 0xf1ff
	v_add_co_ci_u32_e64 v46, s2, s15, v44, s2
	global_load_b64 v[43:44], v[43:44], off
	v_add_co_u32 v47, s2, v45, s14
	s_wait_alu 0xf1ff
	v_add_co_ci_u32_e64 v48, s2, s15, v46, s2
	global_load_b64 v[49:50], v[104:105], off offset:1952
	global_load_b64 v[45:46], v[45:46], off
	global_load_b64 v[51:52], v[104:105], off offset:2120
	global_load_b64 v[47:48], v[47:48], off
	s_wait_loadcnt 0x17
	v_mul_f32_e32 v20, v1, v22
	s_wait_loadcnt 0x16
	v_dual_mul_f32 v53, v0, v22 :: v_dual_mul_f32 v22, v5, v24
	v_mul_f32_e32 v24, v4, v24
	s_delay_alu instid0(VALU_DEP_2) | instskip(NEXT) | instid1(VALU_DEP_2)
	v_fmac_f32_e32 v22, v4, v23
	v_fma_f32 v23, v5, v23, -v24
	s_wait_loadcnt 0x12
	v_dual_mul_f32 v5, v10, v28 :: v_dual_fmac_f32 v20, v0, v21
	v_fma_f32 v21, v1, v21, -v53
	v_dual_mul_f32 v1, v8, v26 :: v_dual_mul_f32 v4, v11, v28
	s_delay_alu instid0(VALU_DEP_3) | instskip(SKIP_2) | instid1(VALU_DEP_3)
	v_fma_f32 v5, v11, v27, -v5
	s_wait_loadcnt 0xc
	v_dual_mul_f32 v11, v2, v36 :: v_dual_mul_f32 v0, v9, v26
	v_fma_f32 v1, v9, v25, -v1
	v_dual_fmac_f32 v4, v10, v27 :: v_dual_mul_f32 v9, v12, v30
	v_mul_f32_e32 v10, v3, v36
	s_delay_alu instid0(VALU_DEP_4)
	v_fma_f32 v11, v3, v35, -v11
	s_wait_loadcnt 0x7
	v_mul_f32_e32 v3, v6, v34
	v_fma_f32 v9, v13, v29, -v9
	v_fmac_f32_e32 v10, v2, v35
	v_mul_f32_e32 v2, v7, v34
	s_delay_alu instid0(VALU_DEP_4)
	v_fma_f32 v3, v7, v33, -v3
	s_wait_loadcnt 0x5
	v_mul_f32_e32 v7, v16, v40
	v_fmac_f32_e32 v0, v8, v25
	v_mul_f32_e32 v8, v13, v30
	v_fmac_f32_e32 v2, v6, v33
	v_mul_f32_e32 v6, v17, v40
	v_fma_f32 v7, v17, v39, -v7
	ds_store_2addr_b64 v141, v[0:1], v[4:5] offset0:55 offset1:76
	s_wait_loadcnt 0x0
	v_mul_f32_e32 v17, v47, v52
	v_mul_f32_e32 v0, v15, v32
	v_dual_mul_f32 v1, v14, v32 :: v_dual_mul_f32 v4, v19, v38
	v_dual_mul_f32 v5, v18, v38 :: v_dual_fmac_f32 v8, v12, v29
	s_delay_alu instid0(VALU_DEP_3) | instskip(NEXT) | instid1(VALU_DEP_3)
	v_dual_mul_f32 v13, v43, v42 :: v_dual_fmac_f32 v0, v14, v31
	v_fma_f32 v1, v15, v31, -v1
	v_mul_f32_e32 v12, v44, v42
	v_mul_f32_e32 v14, v46, v50
	v_dual_mul_f32 v15, v45, v50 :: v_dual_fmac_f32 v6, v16, v39
	v_mul_f32_e32 v16, v48, v52
	v_fmac_f32_e32 v4, v18, v37
	v_fma_f32 v5, v19, v37, -v5
	v_fmac_f32_e32 v12, v43, v41
	v_fma_f32 v13, v44, v41, -v13
	;; [unrolled: 2-line block ×4, first 2 shown]
	ds_store_2addr_b64 v141, v[20:21], v[22:23] offset0:13 offset1:34
	ds_store_2addr_b64 v141, v[8:9], v[0:1] offset0:97 offset1:118
	;; [unrolled: 1-line block ×5, first 2 shown]
	ds_store_b64 v141, v[16:17] offset:2120
.LBB0_3:
	s_wait_alu 0xfffe
	s_or_b32 exec_lo, exec_lo, s3
	global_wb scope:SCOPE_SE
	s_wait_dscnt 0x0
	s_wait_kmcnt 0x0
	s_barrier_signal -1
	s_barrier_wait -1
	global_inv scope:SCOPE_SE
	ds_load_2addr_b64 v[44:47], v141 offset1:21
	ds_load_2addr_b64 v[36:39], v141 offset0:42 offset1:63
	ds_load_2addr_b64 v[28:31], v141 offset0:84 offset1:105
	;; [unrolled: 1-line block ×5, first 2 shown]
	ds_load_b64 v[50:51], v141 offset:2016
	s_load_b64 s[0:1], s[0:1], 0x8
	v_mov_b32_e32 v4, 0
	v_mov_b32_e32 v5, 0
                                        ; implicit-def: $vgpr18
                                        ; implicit-def: $vgpr12
                                        ; implicit-def: $vgpr8
                                        ; implicit-def: $vgpr48
                                        ; implicit-def: $vgpr22
                                        ; implicit-def: $vgpr26
	s_and_saveexec_b32 s2, vcc_lo
	s_cbranch_execz .LBB0_5
; %bb.4:
	ds_load_2addr_b64 v[4:7], v141 offset0:13 offset1:34
	ds_load_2addr_b64 v[24:27], v141 offset0:55 offset1:76
	;; [unrolled: 1-line block ×6, first 2 shown]
	ds_load_b64 v[48:49], v141 offset:2120
.LBB0_5:
	s_wait_alu 0xfffe
	s_or_b32 exec_lo, exec_lo, s2
	s_wait_dscnt 0x6
	v_dual_add_f32 v53, v44, v46 :: v_dual_add_f32 v54, v45, v47
	s_wait_dscnt 0x0
	v_dual_add_f32 v55, v50, v46 :: v_dual_sub_f32 v56, v47, v51
	v_sub_f32_e32 v57, v46, v50
	s_delay_alu instid0(VALU_DEP_3) | instskip(SKIP_2) | instid1(VALU_DEP_3)
	v_dual_add_f32 v53, v53, v36 :: v_dual_add_f32 v54, v54, v37
	v_add_f32_e32 v79, v42, v36
	v_sub_f32_e32 v93, v24, v10
	v_dual_sub_f32 v103, v26, v8 :: v_dual_add_f32 v46, v53, v38
	s_delay_alu instid0(VALU_DEP_4) | instskip(SKIP_2) | instid1(VALU_DEP_3)
	v_add_f32_e32 v53, v54, v39
	v_dual_add_f32 v54, v51, v47 :: v_dual_mul_f32 v47, 0xbeedf032, v56
	v_mul_f32_e32 v58, 0xbeedf032, v57
	v_dual_add_f32 v46, v46, v28 :: v_dual_add_f32 v53, v53, v29
	v_mul_f32_e32 v61, 0xbf7e222b, v56
	v_dual_mul_f32 v59, 0xbf52af12, v56 :: v_dual_mul_f32 v60, 0xbf52af12, v57
	s_delay_alu instid0(VALU_DEP_3) | instskip(SKIP_2) | instid1(VALU_DEP_4)
	v_dual_add_f32 v46, v46, v30 :: v_dual_add_f32 v53, v53, v31
	v_mul_f32_e32 v62, 0xbf7e222b, v57
	v_fma_f32 v64, 0x3f62ad3f, v55, -v47
	v_fma_f32 v66, 0x3f116cb1, v55, -v59
	s_delay_alu instid0(VALU_DEP_4) | instskip(SKIP_1) | instid1(VALU_DEP_4)
	v_dual_add_f32 v46, v46, v0 :: v_dual_add_f32 v53, v53, v1
	v_mul_f32_e32 v63, 0xbf6f5d39, v56
	v_dual_fmamk_f32 v65, v54, 0x3f62ad3f, v58 :: v_dual_add_f32 v64, v44, v64
	s_delay_alu instid0(VALU_DEP_3) | instskip(NEXT) | instid1(VALU_DEP_4)
	v_dual_add_f32 v46, v46, v2 :: v_dual_fmac_f32 v47, 0x3f62ad3f, v55
	v_dual_add_f32 v53, v53, v3 :: v_dual_fmamk_f32 v70, v54, 0x3df6dbef, v62
	v_fma_f32 v58, 0x3f62ad3f, v54, -v58
	s_delay_alu instid0(VALU_DEP_3) | instskip(SKIP_3) | instid1(VALU_DEP_4)
	v_dual_add_f32 v46, v46, v32 :: v_dual_fmac_f32 v59, 0x3f116cb1, v55
	v_fmamk_f32 v67, v54, 0x3f116cb1, v60
	v_fma_f32 v69, 0x3df6dbef, v55, -v61
	v_fma_f32 v60, 0x3f116cb1, v54, -v60
	v_dual_add_f32 v46, v46, v34 :: v_dual_add_f32 v53, v53, v33
	v_add_f32_e32 v59, v44, v59
	s_delay_alu instid0(VALU_DEP_3) | instskip(NEXT) | instid1(VALU_DEP_3)
	v_dual_add_f32 v71, v44, v47 :: v_dual_add_f32 v60, v45, v60
	v_dual_add_f32 v46, v46, v40 :: v_dual_add_f32 v53, v53, v35
	v_dual_sub_f32 v97, v27, v9 :: v_dual_mul_f32 v102, 0xbf52af12, v103
	s_delay_alu instid0(VALU_DEP_2) | instskip(SKIP_1) | instid1(VALU_DEP_3)
	v_dual_sub_f32 v147, v23, v13 :: v_dual_add_f32 v46, v46, v42
	v_add_f32_e32 v65, v45, v65
	v_dual_sub_f32 v149, v20, v14 :: v_dual_mul_f32 v82, 0x3eedf032, v97
	s_delay_alu instid0(VALU_DEP_3)
	v_dual_sub_f32 v155, v17, v19 :: v_dual_add_f32 v46, v46, v50
	v_fma_f32 v50, 0x3df6dbef, v54, -v62
	v_mul_f32_e32 v62, 0xbf6f5d39, v57
	v_add_f32_e32 v47, v53, v41
	v_dual_add_f32 v53, v45, v58 :: v_dual_mul_f32 v72, 0xbf29c268, v56
	v_add_f32_e32 v58, v44, v66
	v_dual_add_f32 v66, v45, v67 :: v_dual_add_f32 v67, v44, v69
	v_dual_add_f32 v69, v45, v70 :: v_dual_mul_f32 v56, 0xbe750f2a, v56
	v_fmamk_f32 v70, v54, 0xbeb58ec6, v62
	v_fma_f32 v62, 0xbeb58ec6, v54, -v62
	v_fmac_f32_e32 v61, 0x3df6dbef, v55
	v_fma_f32 v74, 0xbf3f9e67, v55, -v72
	v_fmac_f32_e32 v72, 0xbf3f9e67, v55
	s_delay_alu instid0(VALU_DEP_4) | instskip(NEXT) | instid1(VALU_DEP_4)
	v_dual_mul_f32 v73, 0xbf29c268, v57 :: v_dual_add_f32 v62, v45, v62
	v_add_f32_e32 v61, v44, v61
	v_dual_add_f32 v47, v47, v43 :: v_dual_add_f32 v50, v45, v50
	v_fma_f32 v76, 0xbf788fa5, v55, -v56
	s_delay_alu instid0(VALU_DEP_4) | instskip(SKIP_1) | instid1(VALU_DEP_4)
	v_dual_add_f32 v72, v44, v72 :: v_dual_fmamk_f32 v75, v54, 0xbf3f9e67, v73
	v_fma_f32 v73, 0xbf3f9e67, v54, -v73
	v_dual_add_f32 v47, v47, v51 :: v_dual_add_f32 v70, v45, v70
	v_fma_f32 v51, 0xbeb58ec6, v55, -v63
	v_dual_fmac_f32 v63, 0xbeb58ec6, v55 :: v_dual_add_f32 v74, v44, v74
	s_delay_alu instid0(VALU_DEP_4) | instskip(SKIP_1) | instid1(VALU_DEP_4)
	v_dual_add_f32 v73, v45, v73 :: v_dual_fmac_f32 v56, 0xbf788fa5, v55
	v_mul_f32_e32 v57, 0xbe750f2a, v57
	v_add_f32_e32 v51, v44, v51
	v_dual_sub_f32 v77, v37, v43 :: v_dual_add_f32 v76, v44, v76
	v_dual_add_f32 v75, v45, v75 :: v_dual_sub_f32 v36, v36, v42
	v_add_f32_e32 v63, v44, v63
	v_add_f32_e32 v44, v44, v56
	v_fmamk_f32 v78, v54, 0xbf788fa5, v57
	v_fma_f32 v42, 0xbf788fa5, v54, -v57
	v_mul_f32_e32 v54, 0xbf52af12, v36
	v_dual_mul_f32 v56, 0xbf6f5d39, v77 :: v_dual_mul_f32 v57, 0xbf6f5d39, v36
	s_delay_alu instid0(VALU_DEP_4) | instskip(NEXT) | instid1(VALU_DEP_4)
	v_add_f32_e32 v55, v45, v78
	v_dual_add_f32 v42, v45, v42 :: v_dual_add_f32 v37, v43, v37
	v_mul_f32_e32 v137, 0x3e750f2a, v147
	v_dual_sub_f32 v159, v16, v18 :: v_dual_mul_f32 v78, 0x3f29c268, v36
	v_mul_f32_e32 v157, 0xbf6f5d39, v155
	s_delay_alu instid0(VALU_DEP_4)
	v_fmamk_f32 v45, v37, 0x3f116cb1, v54
	v_fma_f32 v54, 0x3f116cb1, v37, -v54
	v_add_co_u32 v52, null, v143, 13
	global_wb scope:SCOPE_SE
	v_add_f32_e32 v45, v45, v65
	v_dual_add_f32 v53, v54, v53 :: v_dual_fmamk_f32 v54, v37, 0xbeb58ec6, v57
	v_mul_f32_e32 v81, 0xbf52af12, v77
	s_wait_kmcnt 0x0
	s_barrier_signal -1
	s_barrier_wait -1
	global_inv scope:SCOPE_SE
	v_add_f32_e32 v54, v54, v66
	v_fma_f32 v43, 0x3f116cb1, v79, -v81
	v_fmac_f32_e32 v81, 0x3f116cb1, v79
	v_mul_f32_e32 v66, 0xbe750f2a, v36
	v_sub_f32_e32 v84, v6, v48
	s_delay_alu instid0(VALU_DEP_4)
	v_dual_sub_f32 v86, v25, v11 :: v_dual_add_f32 v43, v43, v64
	v_fma_f32 v64, 0xbeb58ec6, v79, -v56
	v_add_f32_e32 v65, v81, v71
	v_fmac_f32_e32 v56, 0xbeb58ec6, v79
	v_fma_f32 v57, 0xbeb58ec6, v37, -v57
	v_sub_f32_e32 v138, v21, v15
	v_dual_add_f32 v58, v64, v58 :: v_dual_mul_f32 v71, 0xbe750f2a, v77
	s_delay_alu instid0(VALU_DEP_4) | instskip(NEXT) | instid1(VALU_DEP_4)
	v_dual_add_f32 v56, v56, v59 :: v_dual_mul_f32 v59, 0x3f29c268, v77
	v_add_f32_e32 v57, v57, v60
	v_mul_f32_e32 v87, 0x3f7e222b, v86
	s_delay_alu instid0(VALU_DEP_4)
	v_fma_f32 v64, 0xbf788fa5, v79, -v71
	v_mul_f32_e32 v98, 0xbf52af12, v97
	v_sub_f32_e32 v156, v22, v12
	v_mul_f32_e32 v96, 0xbf7e222b, v149
	v_mul_f32_e32 v94, 0xbf7e222b, v138
	v_add_f32_e32 v60, v64, v67
	v_fmamk_f32 v64, v37, 0xbf788fa5, v66
	v_fma_f32 v66, 0xbf788fa5, v37, -v66
	v_fma_f32 v67, 0xbf3f9e67, v79, -v59
	v_dual_mul_f32 v146, 0x3e750f2a, v138 :: v_dual_mul_f32 v139, 0x3e750f2a, v156
	v_mul_f32_e32 v154, 0x3eedf032, v156
	s_delay_alu instid0(VALU_DEP_3) | instskip(SKIP_4) | instid1(VALU_DEP_4)
	v_dual_add_f32 v50, v66, v50 :: v_dual_add_f32 v51, v67, v51
	v_fmamk_f32 v66, v37, 0xbf3f9e67, v78
	v_mul_f32_e32 v67, 0x3f7e222b, v77
	v_mul_f32_e32 v100, 0xbf52af12, v156
	;; [unrolled: 1-line block ×3, first 2 shown]
	v_dual_add_f32 v66, v66, v70 :: v_dual_fmac_f32 v71, 0xbf788fa5, v79
	s_delay_alu instid0(VALU_DEP_4) | instskip(SKIP_1) | instid1(VALU_DEP_3)
	v_fma_f32 v70, 0x3df6dbef, v79, -v67
	v_dual_add_f32 v64, v64, v69 :: v_dual_mul_f32 v69, 0x3f7e222b, v36
	v_dual_mul_f32 v36, 0x3eedf032, v36 :: v_dual_add_f32 v61, v71, v61
	v_fma_f32 v71, 0xbf3f9e67, v37, -v78
	s_delay_alu instid0(VALU_DEP_4) | instskip(NEXT) | instid1(VALU_DEP_2)
	v_dual_add_f32 v70, v70, v74 :: v_dual_fmac_f32 v59, 0xbf3f9e67, v79
	v_dual_add_f32 v62, v71, v62 :: v_dual_mul_f32 v71, 0x3eedf032, v77
	s_delay_alu instid0(VALU_DEP_2) | instskip(NEXT) | instid1(VALU_DEP_2)
	v_add_f32_e32 v59, v59, v63
	v_fma_f32 v74, 0x3f62ad3f, v79, -v71
	v_fmac_f32_e32 v71, 0x3f62ad3f, v79
	v_fmamk_f32 v63, v37, 0x3df6dbef, v69
	v_fma_f32 v69, 0x3df6dbef, v37, -v69
	s_delay_alu instid0(VALU_DEP_3) | instskip(NEXT) | instid1(VALU_DEP_3)
	v_add_f32_e32 v44, v71, v44
	v_add_f32_e32 v63, v63, v75
	v_dual_add_f32 v75, v40, v38 :: v_dual_sub_f32 v38, v38, v40
	s_delay_alu instid0(VALU_DEP_4) | instskip(SKIP_2) | instid1(VALU_DEP_4)
	v_add_f32_e32 v69, v69, v73
	v_dual_add_f32 v73, v74, v76 :: v_dual_fmamk_f32 v74, v37, 0x3f62ad3f, v36
	v_fma_f32 v36, 0x3f62ad3f, v37, -v36
	v_dual_add_f32 v37, v41, v39 :: v_dual_mul_f32 v40, 0xbf7e222b, v38
	v_fmac_f32_e32 v67, 0x3df6dbef, v79
	s_delay_alu instid0(VALU_DEP_3) | instskip(NEXT) | instid1(VALU_DEP_3)
	v_dual_mul_f32 v79, 0x3f6f5d39, v103 :: v_dual_add_f32 v36, v36, v42
	v_fmamk_f32 v42, v37, 0x3df6dbef, v40
	s_delay_alu instid0(VALU_DEP_1) | instskip(SKIP_3) | instid1(VALU_DEP_3)
	v_dual_add_f32 v42, v42, v45 :: v_dual_add_f32 v67, v67, v72
	v_dual_sub_f32 v72, v39, v41 :: v_dual_add_f32 v41, v74, v55
	v_mul_f32_e32 v74, 0x3eedf032, v38
	v_mul_f32_e32 v55, 0xbe750f2a, v38
	;; [unrolled: 1-line block ×4, first 2 shown]
	s_delay_alu instid0(VALU_DEP_2) | instskip(SKIP_1) | instid1(VALU_DEP_2)
	v_fma_f32 v39, 0x3df6dbef, v75, -v76
	v_fmac_f32_e32 v76, 0x3df6dbef, v75
	v_add_f32_e32 v39, v39, v43
	v_mul_f32_e32 v43, 0xbe750f2a, v72
	s_delay_alu instid0(VALU_DEP_1) | instskip(NEXT) | instid1(VALU_DEP_1)
	v_fma_f32 v45, 0xbf788fa5, v75, -v43
	v_add_f32_e32 v45, v45, v58
	v_mul_f32_e32 v58, 0x3f6f5d39, v38
	v_fma_f32 v40, 0x3df6dbef, v37, -v40
	v_add_f32_e32 v65, v76, v65
	s_delay_alu instid0(VALU_DEP_2) | instskip(SKIP_1) | instid1(VALU_DEP_1)
	v_dual_add_f32 v40, v40, v53 :: v_dual_fmamk_f32 v53, v37, 0xbf788fa5, v55
	v_fma_f32 v55, 0xbf788fa5, v37, -v55
	v_add_f32_e32 v55, v55, v57
	v_fmamk_f32 v57, v37, 0xbeb58ec6, v58
	v_fma_f32 v58, 0xbeb58ec6, v37, -v58
	s_delay_alu instid0(VALU_DEP_1) | instskip(SKIP_1) | instid1(VALU_DEP_1)
	v_add_f32_e32 v50, v58, v50
	v_fmamk_f32 v58, v37, 0x3f62ad3f, v74
	v_dual_add_f32 v58, v58, v66 :: v_dual_fmac_f32 v43, 0xbf788fa5, v75
	s_delay_alu instid0(VALU_DEP_1) | instskip(SKIP_2) | instid1(VALU_DEP_1)
	v_add_f32_e32 v43, v43, v56
	v_dual_mul_f32 v56, 0x3eedf032, v72 :: v_dual_add_f32 v53, v53, v54
	v_fma_f32 v54, 0xbeb58ec6, v75, -v71
	v_add_f32_e32 v54, v54, v60
	s_delay_alu instid0(VALU_DEP_3) | instskip(SKIP_1) | instid1(VALU_DEP_2)
	v_fma_f32 v60, 0x3f62ad3f, v75, -v56
	v_fmac_f32_e32 v56, 0x3f62ad3f, v75
	v_dual_add_f32 v51, v60, v51 :: v_dual_mul_f32 v60, 0xbf52af12, v72
	s_delay_alu instid0(VALU_DEP_2) | instskip(NEXT) | instid1(VALU_DEP_2)
	v_add_f32_e32 v56, v56, v59
	v_fma_f32 v66, 0x3f116cb1, v75, -v60
	v_fmac_f32_e32 v60, 0x3f116cb1, v75
	s_delay_alu instid0(VALU_DEP_2) | instskip(NEXT) | instid1(VALU_DEP_2)
	v_add_f32_e32 v66, v66, v70
	v_dual_add_f32 v60, v60, v67 :: v_dual_add_f32 v57, v57, v64
	v_mul_f32_e32 v64, 0xbf52af12, v38
	v_mul_f32_e32 v38, 0xbf29c268, v38
	v_dual_fmac_f32 v71, 0xbeb58ec6, v75 :: v_dual_add_f32 v70, v34, v28
	s_delay_alu instid0(VALU_DEP_3) | instskip(NEXT) | instid1(VALU_DEP_3)
	v_dual_sub_f32 v28, v28, v34 :: v_dual_fmamk_f32 v59, v37, 0x3f116cb1, v64
	v_fma_f32 v34, 0xbf3f9e67, v37, -v38
	v_sub_f32_e32 v67, v29, v35
	s_delay_alu instid0(VALU_DEP_4) | instskip(SKIP_1) | instid1(VALU_DEP_4)
	v_add_f32_e32 v61, v71, v61
	v_fma_f32 v71, 0x3f62ad3f, v37, -v74
	v_dual_add_f32 v59, v59, v63 :: v_dual_add_f32 v34, v34, v36
	v_fma_f32 v63, 0x3f116cb1, v37, -v64
	v_add_f32_e32 v29, v35, v29
	s_delay_alu instid0(VALU_DEP_4) | instskip(NEXT) | instid1(VALU_DEP_3)
	v_add_f32_e32 v62, v71, v62
	v_add_f32_e32 v63, v63, v69
	v_fmamk_f32 v69, v37, 0xbf3f9e67, v38
	v_mul_f32_e32 v37, 0xbf6f5d39, v28
	s_delay_alu instid0(VALU_DEP_1) | instskip(SKIP_2) | instid1(VALU_DEP_3)
	v_fmamk_f32 v36, v29, 0xbeb58ec6, v37
	v_mul_f32_e32 v71, 0xbf29c268, v72
	v_mul_f32_e32 v72, 0xbf6f5d39, v67
	v_add_f32_e32 v36, v36, v42
	s_delay_alu instid0(VALU_DEP_3) | instskip(NEXT) | instid1(VALU_DEP_3)
	v_fma_f32 v64, 0xbf3f9e67, v75, -v71
	v_fma_f32 v35, 0xbeb58ec6, v70, -v72
	v_fmac_f32_e32 v72, 0xbeb58ec6, v70
	s_delay_alu instid0(VALU_DEP_3) | instskip(NEXT) | instid1(VALU_DEP_3)
	v_dual_fmac_f32 v71, 0xbf3f9e67, v75 :: v_dual_add_f32 v64, v64, v73
	v_add_f32_e32 v35, v35, v39
	v_mul_f32_e32 v39, 0x3f29c268, v67
	v_sub_f32_e32 v73, v7, v49
	s_delay_alu instid0(VALU_DEP_2) | instskip(NEXT) | instid1(VALU_DEP_1)
	v_fma_f32 v42, 0xbf3f9e67, v70, -v39
	v_add_f32_e32 v42, v42, v45
	v_dual_add_f32 v38, v69, v41 :: v_dual_add_f32 v41, v71, v44
	v_mul_f32_e32 v44, 0x3f29c268, v28
	v_fma_f32 v37, 0xbeb58ec6, v29, -v37
	v_mul_f32_e32 v69, 0x3eedf032, v67
	v_mul_f32_e32 v71, 0xbf7e222b, v28
	s_delay_alu instid0(VALU_DEP_3) | instskip(SKIP_1) | instid1(VALU_DEP_4)
	v_add_f32_e32 v37, v37, v40
	v_fmamk_f32 v40, v29, 0xbf3f9e67, v44
	v_fma_f32 v45, 0x3f62ad3f, v70, -v69
	v_fma_f32 v44, 0xbf3f9e67, v29, -v44
	s_delay_alu instid0(VALU_DEP_3) | instskip(NEXT) | instid1(VALU_DEP_3)
	v_dual_add_f32 v40, v40, v53 :: v_dual_mul_f32 v53, 0x3eedf032, v28
	v_add_f32_e32 v45, v45, v54
	s_delay_alu instid0(VALU_DEP_2) | instskip(NEXT) | instid1(VALU_DEP_1)
	v_fmamk_f32 v54, v29, 0x3f62ad3f, v53
	v_dual_add_f32 v54, v54, v57 :: v_dual_fmac_f32 v39, 0xbf3f9e67, v70
	s_delay_alu instid0(VALU_DEP_1) | instskip(SKIP_2) | instid1(VALU_DEP_1)
	v_add_f32_e32 v39, v39, v43
	v_add_f32_e32 v43, v44, v55
	v_mul_f32_e32 v44, 0xbf7e222b, v67
	v_fma_f32 v55, 0x3df6dbef, v70, -v44
	s_delay_alu instid0(VALU_DEP_1) | instskip(NEXT) | instid1(VALU_DEP_1)
	v_dual_fmac_f32 v44, 0x3df6dbef, v70 :: v_dual_add_f32 v51, v55, v51
	v_dual_add_f32 v44, v44, v56 :: v_dual_fmac_f32 v69, 0x3f62ad3f, v70
	s_delay_alu instid0(VALU_DEP_1) | instskip(SKIP_2) | instid1(VALU_DEP_2)
	v_add_f32_e32 v57, v69, v61
	v_mul_f32_e32 v61, 0x3e750f2a, v28
	v_mul_f32_e32 v28, 0x3f52af12, v28
	v_fmamk_f32 v56, v29, 0xbf788fa5, v61
	s_delay_alu instid0(VALU_DEP_1) | instskip(SKIP_1) | instid1(VALU_DEP_1)
	v_add_f32_e32 v56, v56, v59
	v_fma_f32 v59, 0xbf788fa5, v29, -v61
	v_add_f32_e32 v59, v59, v63
	v_fmamk_f32 v63, v29, 0x3f116cb1, v28
	v_fma_f32 v28, 0x3f116cb1, v29, -v28
	v_mul_f32_e32 v55, 0x3e750f2a, v67
	s_delay_alu instid0(VALU_DEP_2) | instskip(NEXT) | instid1(VALU_DEP_1)
	v_dual_mul_f32 v67, 0x3f52af12, v67 :: v_dual_add_f32 v28, v28, v34
	v_fma_f32 v61, 0x3f116cb1, v70, -v67
	v_fmac_f32_e32 v67, 0x3f116cb1, v70
	s_delay_alu instid0(VALU_DEP_2) | instskip(SKIP_2) | instid1(VALU_DEP_2)
	v_dual_add_f32 v61, v61, v64 :: v_dual_add_f32 v64, v32, v30
	v_fma_f32 v69, 0x3df6dbef, v29, -v71
	v_sub_f32_e32 v30, v30, v32
	v_add_f32_e32 v62, v69, v62
	v_fma_f32 v53, 0x3f62ad3f, v29, -v53
	s_delay_alu instid0(VALU_DEP_3) | instskip(SKIP_2) | instid1(VALU_DEP_4)
	v_dual_add_f32 v65, v72, v65 :: v_dual_mul_f32 v32, 0xbf29c268, v30
	v_mul_f32_e32 v69, 0x3f29c268, v86
	v_mul_f32_e32 v72, 0x3f29c268, v138
	v_add_f32_e32 v50, v53, v50
	v_fmamk_f32 v53, v29, 0x3df6dbef, v71
	v_add_f32_e32 v29, v33, v31
	s_delay_alu instid0(VALU_DEP_2) | instskip(SKIP_2) | instid1(VALU_DEP_4)
	v_add_f32_e32 v53, v53, v58
	v_fma_f32 v58, 0xbf788fa5, v70, -v55
	v_fmac_f32_e32 v55, 0xbf788fa5, v70
	v_fmamk_f32 v34, v29, 0xbf3f9e67, v32
	s_delay_alu instid0(VALU_DEP_2) | instskip(SKIP_1) | instid1(VALU_DEP_3)
	v_dual_add_f32 v58, v58, v66 :: v_dual_add_f32 v55, v55, v60
	v_sub_f32_e32 v60, v31, v33
	v_add_f32_e32 v34, v34, v36
	s_delay_alu instid0(VALU_DEP_2) | instskip(NEXT) | instid1(VALU_DEP_1)
	v_mul_f32_e32 v66, 0xbf29c268, v60
	v_fma_f32 v31, 0xbf3f9e67, v64, -v66
	s_delay_alu instid0(VALU_DEP_1) | instskip(SKIP_1) | instid1(VALU_DEP_1)
	v_dual_fmac_f32 v66, 0xbf3f9e67, v64 :: v_dual_add_f32 v31, v31, v35
	v_mul_f32_e32 v35, 0x3f7e222b, v60
	v_fma_f32 v36, 0x3df6dbef, v64, -v35
	s_delay_alu instid0(VALU_DEP_1)
	v_add_f32_e32 v36, v36, v42
	v_mul_f32_e32 v42, 0xbf52af12, v30
	v_add_f32_e32 v33, v63, v38
	v_add_f32_e32 v38, v67, v41
	v_fma_f32 v32, 0xbf3f9e67, v29, -v32
	v_mul_f32_e32 v41, 0x3f7e222b, v30
	v_add_f32_e32 v63, v66, v65
	v_mul_f32_e32 v65, 0xbf52af12, v60
	s_delay_alu instid0(VALU_DEP_4) | instskip(NEXT) | instid1(VALU_DEP_4)
	v_dual_fmac_f32 v35, 0x3df6dbef, v64 :: v_dual_add_f32 v32, v32, v37
	v_fmamk_f32 v37, v29, 0x3df6dbef, v41
	v_fma_f32 v41, 0x3df6dbef, v29, -v41
	s_delay_alu instid0(VALU_DEP_3) | instskip(NEXT) | instid1(VALU_DEP_3)
	v_dual_mul_f32 v66, 0x3e750f2a, v30 :: v_dual_add_f32 v35, v35, v39
	v_add_f32_e32 v37, v37, v40
	v_fma_f32 v40, 0x3f116cb1, v64, -v65
	s_delay_alu instid0(VALU_DEP_4) | instskip(SKIP_4) | instid1(VALU_DEP_4)
	v_add_f32_e32 v39, v41, v43
	v_mul_f32_e32 v41, 0x3e750f2a, v60
	v_fmamk_f32 v43, v29, 0x3f116cb1, v42
	v_fma_f32 v42, 0x3f116cb1, v29, -v42
	v_add_f32_e32 v40, v40, v45
	v_fma_f32 v45, 0xbf788fa5, v64, -v41
	s_delay_alu instid0(VALU_DEP_3) | instskip(SKIP_1) | instid1(VALU_DEP_3)
	v_add_f32_e32 v42, v42, v50
	v_fmamk_f32 v50, v29, 0xbf788fa5, v66
	v_add_f32_e32 v45, v45, v51
	v_mul_f32_e32 v51, 0x3eedf032, v60
	v_mul_f32_e32 v60, 0xbf6f5d39, v60
	v_fmac_f32_e32 v65, 0x3f116cb1, v64
	v_dual_add_f32 v43, v43, v54 :: v_dual_add_f32 v50, v50, v53
	s_delay_alu instid0(VALU_DEP_4) | instskip(NEXT) | instid1(VALU_DEP_3)
	v_fma_f32 v53, 0x3f62ad3f, v64, -v51
	v_dual_fmac_f32 v41, 0xbf788fa5, v64 :: v_dual_add_f32 v54, v65, v57
	v_mul_f32_e32 v65, 0x3eedf032, v30
	v_fma_f32 v57, 0xbf788fa5, v29, -v66
	s_delay_alu instid0(VALU_DEP_4) | instskip(SKIP_3) | instid1(VALU_DEP_3)
	v_add_f32_e32 v53, v53, v58
	v_fmac_f32_e32 v51, 0x3f62ad3f, v64
	v_mul_f32_e32 v30, 0xbf6f5d39, v30
	v_fma_f32 v58, 0x3f62ad3f, v29, -v65
	v_add_f32_e32 v51, v51, v55
	s_delay_alu instid0(VALU_DEP_2)
	v_add_f32_e32 v55, v58, v59
	v_sub_f32_e32 v58, v1, v3
	v_add_f32_e32 v41, v41, v44
	v_add_f32_e32 v44, v57, v62
	v_fmamk_f32 v57, v29, 0x3f62ad3f, v65
	v_add_f32_e32 v1, v3, v1
	v_fmamk_f32 v59, v29, 0xbeb58ec6, v30
	v_fma_f32 v29, 0xbeb58ec6, v29, -v30
	v_mul_f32_e32 v62, 0xbf6f5d39, v84
	v_add_f32_e32 v56, v57, v56
	v_fma_f32 v57, 0xbeb58ec6, v64, -v60
	v_dual_add_f32 v33, v59, v33 :: v_dual_fmac_f32 v60, 0xbeb58ec6, v64
	v_mul_f32_e32 v65, 0xbe750f2a, v93
	s_delay_alu instid0(VALU_DEP_3) | instskip(SKIP_3) | instid1(VALU_DEP_2)
	v_add_f32_e32 v57, v57, v61
	v_dual_add_f32 v61, v2, v0 :: v_dual_sub_f32 v0, v0, v2
	v_mul_f32_e32 v2, 0xbe750f2a, v58
	v_add_f32_e32 v38, v60, v38
	v_fma_f32 v30, 0xbf788fa5, v61, -v2
	v_fmac_f32_e32 v2, 0xbf788fa5, v61
	s_delay_alu instid0(VALU_DEP_2) | instskip(NEXT) | instid1(VALU_DEP_2)
	v_add_f32_e32 v160, v30, v31
	v_add_f32_e32 v162, v2, v63
	v_dual_mul_f32 v2, 0xbf29c268, v58 :: v_dual_add_f32 v59, v29, v28
	v_mul_f32_e32 v29, 0x3eedf032, v58
	s_delay_alu instid0(VALU_DEP_1) | instskip(NEXT) | instid1(VALU_DEP_1)
	v_fma_f32 v30, 0x3f62ad3f, v61, -v29
	v_add_f32_e32 v164, v30, v36
	s_delay_alu instid0(VALU_DEP_4) | instskip(SKIP_2) | instid1(VALU_DEP_3)
	v_fma_f32 v30, 0xbf3f9e67, v61, -v2
	v_fmac_f32_e32 v2, 0xbf3f9e67, v61
	v_mul_f32_e32 v36, 0xbf52af12, v86
	v_add_f32_e32 v168, v30, v40
	v_mul_f32_e32 v30, 0x3f52af12, v0
	s_delay_alu instid0(VALU_DEP_4) | instskip(NEXT) | instid1(VALU_DEP_2)
	v_dual_mul_f32 v3, 0xbe750f2a, v0 :: v_dual_add_f32 v170, v2, v54
	v_fmamk_f32 v2, v1, 0x3f116cb1, v30
	v_fmac_f32_e32 v29, 0x3f62ad3f, v61
	s_delay_alu instid0(VALU_DEP_2) | instskip(NEXT) | instid1(VALU_DEP_4)
	v_dual_add_f32 v173, v2, v50 :: v_dual_mul_f32 v2, 0xbf6f5d39, v0
	v_fmamk_f32 v28, v1, 0xbf788fa5, v3
	v_fma_f32 v3, 0xbf788fa5, v1, -v3
	s_delay_alu instid0(VALU_DEP_2) | instskip(SKIP_1) | instid1(VALU_DEP_3)
	v_dual_add_f32 v166, v29, v35 :: v_dual_add_f32 v161, v28, v34
	v_mul_f32_e32 v28, 0x3eedf032, v0
	v_add_f32_e32 v163, v3, v32
	v_mul_f32_e32 v34, 0xbeedf032, v84
	s_delay_alu instid0(VALU_DEP_3) | instskip(SKIP_1) | instid1(VALU_DEP_2)
	v_fmamk_f32 v3, v1, 0x3f62ad3f, v28
	v_fma_f32 v28, 0x3f62ad3f, v1, -v28
	v_add_f32_e32 v165, v3, v37
	v_mul_f32_e32 v3, 0xbf29c268, v0
	s_delay_alu instid0(VALU_DEP_3) | instskip(SKIP_1) | instid1(VALU_DEP_3)
	v_dual_add_f32 v167, v28, v39 :: v_dual_mul_f32 v28, 0x3f52af12, v58
	v_mul_f32_e32 v0, 0x3f7e222b, v0
	v_fmamk_f32 v29, v1, 0xbf3f9e67, v3
	v_fma_f32 v3, 0xbf3f9e67, v1, -v3
	s_delay_alu instid0(VALU_DEP_4) | instskip(NEXT) | instid1(VALU_DEP_3)
	v_fma_f32 v31, 0x3f116cb1, v61, -v28
	v_dual_fmac_f32 v28, 0x3f116cb1, v61 :: v_dual_add_f32 v169, v29, v43
	v_fma_f32 v29, 0x3f116cb1, v1, -v30
	v_mul_f32_e32 v30, 0x3f7e222b, v58
	v_add_f32_e32 v171, v3, v42
	s_delay_alu instid0(VALU_DEP_4) | instskip(NEXT) | instid1(VALU_DEP_4)
	v_dual_mul_f32 v3, 0xbf6f5d39, v58 :: v_dual_add_f32 v174, v28, v41
	v_dual_add_f32 v175, v29, v44 :: v_dual_mul_f32 v44, 0xbf7e222b, v73
	v_fmamk_f32 v29, v1, 0xbeb58ec6, v2
	s_delay_alu instid0(VALU_DEP_3) | instskip(SKIP_3) | instid1(VALU_DEP_4)
	v_fma_f32 v28, 0xbeb58ec6, v61, -v3
	v_fma_f32 v2, 0xbeb58ec6, v1, -v2
	v_mul_f32_e32 v42, 0xbf52af12, v84
	v_add_f32_e32 v172, v31, v45
	v_add_f32_e32 v176, v28, v53
	v_fma_f32 v28, 0x3df6dbef, v61, -v30
	v_dual_add_f32 v179, v2, v55 :: v_dual_fmamk_f32 v2, v1, 0x3df6dbef, v0
	v_fmac_f32_e32 v30, 0x3df6dbef, v61
	v_fma_f32 v0, 0x3df6dbef, v1, -v0
	s_delay_alu instid0(VALU_DEP_4)
	v_add_f32_e32 v180, v28, v57
	v_add_f32_e32 v28, v48, v6
	v_mul_f32_e32 v57, 0xbe750f2a, v86
	v_add_f32_e32 v182, v30, v38
	v_add_f32_e32 v181, v2, v33
	v_mul_f32_e32 v38, 0xbf52af12, v93
	v_fmamk_f32 v30, v28, 0x3df6dbef, v44
	v_dual_mul_f32 v32, 0xbeedf032, v73 :: v_dual_add_f32 v183, v0, v59
	v_mul_f32_e32 v74, 0xbf29c268, v73
	s_delay_alu instid0(VALU_DEP_3) | instskip(SKIP_2) | instid1(VALU_DEP_4)
	v_dual_mul_f32 v58, 0xbf6f5d39, v73 :: v_dual_add_f32 v35, v30, v4
	v_add_f32_e32 v30, v10, v24
	v_add_f32_e32 v177, v29, v56
	v_fmamk_f32 v41, v28, 0xbf3f9e67, v74
	v_fmamk_f32 v1, v28, 0x3f62ad3f, v32
	s_delay_alu instid0(VALU_DEP_4) | instskip(NEXT) | instid1(VALU_DEP_3)
	v_dual_add_f32 v29, v49, v7 :: v_dual_fmamk_f32 v50, v30, 0x3f116cb1, v36
	v_dual_mul_f32 v59, 0xbe750f2a, v97 :: v_dual_add_f32 v54, v41, v4
	s_delay_alu instid0(VALU_DEP_3) | instskip(SKIP_1) | instid1(VALU_DEP_4)
	v_dual_add_f32 v0, v1, v4 :: v_dual_fmac_f32 v3, 0xbeb58ec6, v61
	v_mul_f32_e32 v81, 0xbf29c268, v84
	v_fma_f32 v40, 0xbeb58ec6, v29, -v62
	v_mul_f32_e32 v53, 0xbf7e222b, v84
	v_fma_f32 v2, 0x3f62ad3f, v29, -v34
	v_add_f32_e32 v178, v3, v51
	v_fma_f32 v43, 0xbf3f9e67, v29, -v81
	v_add_f32_e32 v40, v40, v5
	v_fma_f32 v3, 0x3f116cb1, v29, -v42
	v_fmamk_f32 v33, v28, 0xbeb58ec6, v58
	v_dual_mul_f32 v37, 0xbf52af12, v73 :: v_dual_add_f32 v0, v50, v0
	v_dual_add_f32 v56, v43, v5 :: v_dual_fmamk_f32 v43, v30, 0xbf788fa5, v57
	v_fma_f32 v31, 0x3df6dbef, v29, -v53
	v_add_f32_e32 v3, v3, v5
	s_delay_alu instid0(VALU_DEP_3) | instskip(SKIP_1) | instid1(VALU_DEP_4)
	v_dual_add_f32 v33, v33, v4 :: v_dual_add_f32 v60, v43, v35
	v_mul_f32_e32 v45, 0xbf6f5d39, v86
	v_add_f32_e32 v39, v31, v5
	v_add_f32_e32 v31, v11, v25
	;; [unrolled: 1-line block ×3, first 2 shown]
	s_delay_alu instid0(VALU_DEP_4) | instskip(SKIP_1) | instid1(VALU_DEP_4)
	v_fmamk_f32 v41, v30, 0xbeb58ec6, v45
	v_dual_add_f32 v1, v2, v5 :: v_dual_fmamk_f32 v2, v28, 0x3f116cb1, v37
	v_fma_f32 v51, 0x3f116cb1, v31, -v38
	v_fma_f32 v50, 0xbf788fa5, v31, -v65
	s_delay_alu instid0(VALU_DEP_3) | instskip(NEXT) | instid1(VALU_DEP_1)
	v_add_f32_e32 v2, v2, v4
	v_dual_add_f32 v39, v50, v39 :: v_dual_add_f32 v2, v41, v2
	s_delay_alu instid0(VALU_DEP_4) | instskip(SKIP_1) | instid1(VALU_DEP_1)
	v_add_f32_e32 v1, v51, v1
	v_fmamk_f32 v51, v30, 0xbf3f9e67, v69
	v_add_f32_e32 v50, v51, v33
	v_mul_f32_e32 v75, 0x3f29c268, v93
	v_dual_mul_f32 v92, 0x3f7e222b, v93 :: v_dual_add_f32 v33, v8, v26
	s_delay_alu instid0(VALU_DEP_2) | instskip(NEXT) | instid1(VALU_DEP_1)
	v_fma_f32 v51, 0xbf3f9e67, v31, -v75
	v_dual_add_f32 v51, v51, v40 :: v_dual_fmamk_f32 v40, v30, 0x3df6dbef, v87
	s_delay_alu instid0(VALU_DEP_1) | instskip(NEXT) | instid1(VALU_DEP_4)
	v_add_f32_e32 v66, v40, v54
	v_fmamk_f32 v40, v33, 0xbf788fa5, v59
	v_fma_f32 v61, 0x3df6dbef, v31, -v92
	s_delay_alu instid0(VALU_DEP_2) | instskip(NEXT) | instid1(VALU_DEP_2)
	v_dual_add_f32 v2, v40, v2 :: v_dual_mul_f32 v43, 0xbf7e222b, v103
	v_add_f32_e32 v67, v61, v56
	v_fma_f32 v56, 0xbeb58ec6, v35, -v79
	v_mul_f32_e32 v55, 0xbf6f5d39, v93
	v_mul_f32_e32 v61, 0xbe750f2a, v103
	v_fma_f32 v64, 0x3df6dbef, v35, -v43
	s_delay_alu instid0(VALU_DEP_4) | instskip(NEXT) | instid1(VALU_DEP_4)
	v_add_f32_e32 v70, v56, v39
	v_fma_f32 v41, 0xbeb58ec6, v31, -v55
	v_add_f32_e32 v39, v14, v20
	s_delay_alu instid0(VALU_DEP_4) | instskip(SKIP_1) | instid1(VALU_DEP_4)
	v_add_f32_e32 v1, v64, v1
	v_mul_f32_e32 v64, 0x3f6f5d39, v97
	v_dual_mul_f32 v56, 0xbf6f5d39, v149 :: v_dual_add_f32 v3, v41, v3
	v_mul_f32_e32 v41, 0xbf7e222b, v97
	v_fmamk_f32 v89, v39, 0xbf788fa5, v146
	s_delay_alu instid0(VALU_DEP_4) | instskip(SKIP_2) | instid1(VALU_DEP_3)
	v_fmamk_f32 v54, v33, 0xbeb58ec6, v64
	v_mul_f32_e32 v85, 0x3eedf032, v103
	v_fmamk_f32 v83, v39, 0x3df6dbef, v94
	v_dual_fmamk_f32 v63, v33, 0x3df6dbef, v41 :: v_dual_add_f32 v60, v54, v60
	v_mul_f32_e32 v54, 0xbf6f5d39, v138
	v_fma_f32 v40, 0xbf788fa5, v35, -v61
	s_delay_alu instid0(VALU_DEP_3) | instskip(NEXT) | instid1(VALU_DEP_2)
	v_add_f32_e32 v0, v63, v0
	v_dual_fmamk_f32 v76, v39, 0xbeb58ec6, v54 :: v_dual_add_f32 v3, v40, v3
	v_add_f32_e32 v40, v15, v21
	s_delay_alu instid0(VALU_DEP_2) | instskip(NEXT) | instid1(VALU_DEP_2)
	v_dual_add_f32 v0, v76, v0 :: v_dual_fmamk_f32 v63, v33, 0x3f62ad3f, v82
	v_fma_f32 v88, 0x3df6dbef, v40, -v96
	v_fma_f32 v77, 0xbeb58ec6, v40, -v56
	s_delay_alu instid0(VALU_DEP_3) | instskip(SKIP_1) | instid1(VALU_DEP_1)
	v_add_f32_e32 v50, v63, v50
	v_fma_f32 v63, 0x3f62ad3f, v35, -v85
	v_add_f32_e32 v71, v63, v51
	v_fma_f32 v63, 0x3f116cb1, v35, -v102
	s_delay_alu instid0(VALU_DEP_2) | instskip(SKIP_2) | instid1(VALU_DEP_4)
	v_add_f32_e32 v71, v88, v71
	v_mul_f32_e32 v88, 0x3f7e222b, v147
	v_mul_f32_e32 v148, 0x3e750f2a, v149
	v_add_f32_e32 v78, v63, v67
	v_add_f32_e32 v83, v83, v50
	;; [unrolled: 1-line block ×3, first 2 shown]
	v_mul_f32_e32 v76, 0x3f29c268, v149
	v_fma_f32 v90, 0xbf788fa5, v40, -v148
	v_mul_f32_e32 v91, 0x3eedf032, v149
	s_delay_alu instid0(VALU_DEP_2) | instskip(SKIP_2) | instid1(VALU_DEP_4)
	v_add_f32_e32 v101, v90, v78
	v_fmamk_f32 v78, v50, 0x3df6dbef, v88
	v_fmamk_f32 v51, v33, 0x3f116cb1, v98
	v_fma_f32 v67, 0x3f62ad3f, v40, -v91
	s_delay_alu instid0(VALU_DEP_2) | instskip(SKIP_1) | instid1(VALU_DEP_3)
	v_add_f32_e32 v66, v51, v66
	v_fmamk_f32 v51, v39, 0xbf3f9e67, v72
	v_dual_add_f32 v70, v67, v70 :: v_dual_mul_f32 v67, 0xbf29c268, v156
	s_delay_alu instid0(VALU_DEP_3) | instskip(NEXT) | instid1(VALU_DEP_3)
	v_add_f32_e32 v66, v89, v66
	v_add_f32_e32 v2, v51, v2
	v_fma_f32 v51, 0xbf3f9e67, v40, -v76
	s_delay_alu instid0(VALU_DEP_2) | instskip(NEXT) | instid1(VALU_DEP_2)
	v_dual_mul_f32 v89, 0x3f7e222b, v156 :: v_dual_add_f32 v134, v78, v2
	v_add_f32_e32 v3, v51, v3
	v_mul_f32_e32 v78, 0xbe750f2a, v155
	v_dual_add_f32 v51, v13, v23 :: v_dual_fmamk_f32 v2, v50, 0xbf788fa5, v137
	v_dual_add_f32 v1, v77, v1 :: v_dual_mul_f32 v90, 0xbf52af12, v147
	v_mul_f32_e32 v153, 0x3eedf032, v147
	s_delay_alu instid0(VALU_DEP_3) | instskip(NEXT) | instid1(VALU_DEP_1)
	v_fma_f32 v99, 0xbf3f9e67, v51, -v67
	v_add_f32_e32 v1, v99, v1
	s_delay_alu instid0(VALU_DEP_4) | instskip(SKIP_1) | instid1(VALU_DEP_1)
	v_fmamk_f32 v99, v50, 0x3f116cb1, v90
	v_mul_f32_e32 v77, 0x3eedf032, v138
	v_fmamk_f32 v63, v39, 0x3f62ad3f, v77
	s_delay_alu instid0(VALU_DEP_1) | instskip(NEXT) | instid1(VALU_DEP_1)
	v_dual_add_f32 v60, v63, v60 :: v_dual_mul_f32 v63, 0xbf29c268, v147
	v_add_f32_e32 v136, v99, v60
	v_add_f32_e32 v60, v18, v16
	;; [unrolled: 1-line block ×3, first 2 shown]
	v_fma_f32 v2, 0xbf788fa5, v51, -v139
	v_mul_f32_e32 v83, 0xbe750f2a, v159
	s_delay_alu instid0(VALU_DEP_2) | instskip(SKIP_3) | instid1(VALU_DEP_3)
	v_add_f32_e32 v151, v2, v71
	v_fmamk_f32 v95, v50, 0xbf3f9e67, v63
	v_fmamk_f32 v2, v60, 0xbf788fa5, v78
	v_fma_f32 v133, 0x3f116cb1, v51, -v100
	v_add_f32_e32 v0, v95, v0
	v_fma_f32 v95, 0x3df6dbef, v51, -v89
	s_delay_alu instid0(VALU_DEP_3) | instskip(SKIP_1) | instid1(VALU_DEP_3)
	v_add_f32_e32 v133, v133, v70
	v_fma_f32 v70, 0x3f62ad3f, v51, -v154
	v_dual_add_f32 v2, v2, v0 :: v_dual_add_f32 v135, v95, v3
	v_fmamk_f32 v3, v50, 0x3f62ad3f, v153
	s_delay_alu instid0(VALU_DEP_3) | instskip(SKIP_1) | instid1(VALU_DEP_3)
	v_add_f32_e32 v185, v70, v101
	v_mul_f32_e32 v95, 0x3eedf032, v155
	v_dual_mul_f32 v101, 0xbf29c268, v155 :: v_dual_add_f32 v184, v3, v66
	v_add_f32_e32 v66, v19, v17
	s_delay_alu instid0(VALU_DEP_3) | instskip(NEXT) | instid1(VALU_DEP_3)
	v_fmamk_f32 v70, v60, 0x3f62ad3f, v95
	v_fmamk_f32 v150, v60, 0xbf3f9e67, v101
	s_delay_alu instid0(VALU_DEP_3) | instskip(SKIP_1) | instid1(VALU_DEP_2)
	v_fma_f32 v0, 0xbf788fa5, v66, -v83
	v_fma_f32 v152, 0xbf3f9e67, v66, -v140
	v_dual_add_f32 v3, v0, v1 :: v_dual_add_f32 v0, v70, v134
	s_delay_alu instid0(VALU_DEP_4) | instskip(SKIP_4) | instid1(VALU_DEP_3)
	v_add_f32_e32 v70, v150, v136
	v_fmamk_f32 v136, v60, 0xbeb58ec6, v157
	v_mul_f32_e32 v150, 0x3f52af12, v155
	v_mul_f32_e32 v158, 0xbf6f5d39, v159
	;; [unrolled: 1-line block ×3, first 2 shown]
	v_fmamk_f32 v134, v60, 0x3f116cb1, v150
	s_delay_alu instid0(VALU_DEP_3) | instskip(NEXT) | instid1(VALU_DEP_3)
	v_fma_f32 v186, 0xbeb58ec6, v66, -v158
	v_fma_f32 v71, 0x3f62ad3f, v66, -v99
	s_delay_alu instid0(VALU_DEP_1) | instskip(SKIP_2) | instid1(VALU_DEP_2)
	v_add_f32_e32 v1, v71, v135
	v_dual_add_f32 v71, v152, v133 :: v_dual_mul_f32 v152, 0x3f52af12, v159
	v_mul_lo_u16 v133, v143, 13
	v_fma_f32 v135, 0x3f116cb1, v66, -v152
	s_delay_alu instid0(VALU_DEP_2) | instskip(SKIP_2) | instid1(VALU_DEP_4)
	v_and_b32_e32 v187, 0xffff, v133
	v_add_f32_e32 v133, v134, v145
	v_mul_u32_u24_e32 v145, 13, v52
	v_dual_add_f32 v134, v135, v151 :: v_dual_add_f32 v135, v136, v184
	v_add_f32_e32 v136, v186, v185
	v_lshl_add_u32 v151, v187, 3, v144
	ds_store_2addr_b64 v151, v[46:47], v[160:161] offset1:1
	ds_store_2addr_b64 v151, v[164:165], v[168:169] offset0:2 offset1:3
	ds_store_2addr_b64 v151, v[172:173], v[176:177] offset0:4 offset1:5
	;; [unrolled: 1-line block ×5, first 2 shown]
	ds_store_b64 v151, v[162:163] offset:96
	s_and_saveexec_b32 s2, vcc_lo
	s_cbranch_execz .LBB0_7
; %bb.6:
	v_mul_f32_e32 v84, 0xbe750f2a, v84
	v_mul_f32_e32 v207, 0xbf788fa5, v60
	v_dual_mul_f32 v46, 0xbf3f9e67, v28 :: v_dual_mul_f32 v47, 0xbf3f9e67, v29
	v_mul_f32_e32 v218, 0xbe750f2a, v73
	s_delay_alu instid0(VALU_DEP_4) | instskip(SKIP_2) | instid1(VALU_DEP_3)
	v_dual_fmamk_f32 v208, v29, 0xbf788fa5, v84 :: v_dual_mul_f32 v209, 0xbf788fa5, v66
	v_dual_mul_f32 v175, 0x3df6dbef, v30 :: v_dual_mul_f32 v176, 0x3df6dbef, v31
	v_mul_f32_e32 v86, 0x3eedf032, v86
	v_add_f32_e32 v208, v208, v5
	v_mul_f32_e32 v93, 0x3eedf032, v93
	s_delay_alu instid0(VALU_DEP_4) | instskip(SKIP_1) | instid1(VALU_DEP_3)
	v_dual_mul_f32 v159, 0x3f7e222b, v159 :: v_dual_add_f32 v92, v92, v176
	v_dual_mul_f32 v97, 0xbf29c268, v97 :: v_dual_sub_f32 v46, v46, v74
	v_dual_fmamk_f32 v212, v31, 0x3f62ad3f, v93 :: v_dual_add_f32 v47, v81, v47
	v_mul_f32_e32 v103, 0xbf29c268, v103
	v_fma_f32 v219, 0xbf788fa5, v28, -v218
	v_dual_mul_f32 v168, 0x3f116cb1, v31 :: v_dual_mul_f32 v185, 0x3f116cb1, v33
	v_dual_mul_f32 v195, 0xbf788fa5, v39 :: v_dual_mul_f32 v196, 0xbf788fa5, v40
	v_add_f32_e32 v208, v212, v208
	s_delay_alu instid0(VALU_DEP_4)
	v_dual_mul_f32 v216, 0x3f116cb1, v66 :: v_dual_add_f32 v219, v219, v4
	v_fma_f32 v220, 0x3f62ad3f, v30, -v86
	v_dual_mul_f32 v149, 0x3f52af12, v149 :: v_dual_mul_f32 v138, 0x3f52af12, v138
	v_add_f32_e32 v46, v46, v4
	v_fmamk_f32 v81, v66, 0x3df6dbef, v159
	v_fmamk_f32 v212, v35, 0xbf3f9e67, v103
	v_mul_f32_e32 v202, 0x3f116cb1, v51
	v_fma_f32 v74, 0x3f116cb1, v39, -v138
	v_dual_mul_f32 v156, 0xbf6f5d39, v156 :: v_dual_sub_f32 v87, v175, v87
	s_delay_alu instid0(VALU_DEP_4) | instskip(SKIP_3) | instid1(VALU_DEP_3)
	v_add_f32_e32 v73, v212, v208
	v_fmamk_f32 v208, v40, 0x3f116cb1, v149
	v_dual_mul_f32 v186, 0x3f116cb1, v35 :: v_dual_mul_f32 v215, 0x3f116cb1, v60
	v_dual_mul_f32 v217, 0xbeb58ec6, v60 :: v_dual_mul_f32 v212, 0xbeb58ec6, v66
	v_dual_add_f32 v73, v208, v73 :: v_dual_fmamk_f32 v208, v51, 0xbeb58ec6, v156
	v_add_f32_e32 v46, v87, v46
	v_dual_mul_f32 v205, 0x3f62ad3f, v50 :: v_dual_mul_f32 v206, 0x3f62ad3f, v51
	v_sub_f32_e32 v87, v185, v98
	s_delay_alu instid0(VALU_DEP_4)
	v_add_f32_e32 v73, v208, v73
	v_add_f32_e32 v208, v220, v219
	v_fma_f32 v219, 0xbf3f9e67, v33, -v97
	v_dual_add_f32 v220, v47, v5 :: v_dual_mul_f32 v165, 0xbeb58ec6, v28
	v_mul_f32_e32 v166, 0xbeb58ec6, v29
	v_add_f32_e32 v47, v81, v73
	s_delay_alu instid0(VALU_DEP_4) | instskip(NEXT) | instid1(VALU_DEP_4)
	v_add_f32_e32 v73, v219, v208
	v_dual_add_f32 v81, v92, v220 :: v_dual_add_f32 v92, v102, v186
	v_mul_f32_e32 v102, 0xbf6f5d39, v147
	s_delay_alu instid0(VALU_DEP_3) | instskip(NEXT) | instid1(VALU_DEP_3)
	v_dual_add_f32 v46, v87, v46 :: v_dual_add_f32 v73, v74, v73
	v_dual_sub_f32 v87, v195, v146 :: v_dual_add_f32 v74, v92, v81
	v_add_f32_e32 v81, v148, v196
	v_dual_mul_f32 v173, 0xbf3f9e67, v30 :: v_dual_mul_f32 v174, 0xbf3f9e67, v31
	v_dual_add_f32 v62, v62, v166 :: v_dual_mul_f32 v163, 0x3df6dbef, v28
	v_mul_f32_e32 v164, 0x3df6dbef, v29
	s_delay_alu instid0(VALU_DEP_4)
	v_add_f32_e32 v74, v81, v74
	v_add_f32_e32 v81, v154, v206
	v_fma_f32 v92, 0xbeb58ec6, v50, -v102
	v_mul_f32_e32 v98, 0x3f7e222b, v155
	v_dual_mul_f32 v183, 0x3f62ad3f, v33 :: v_dual_mul_f32 v184, 0x3f62ad3f, v35
	v_dual_add_f32 v87, v87, v46 :: v_dual_sub_f32 v146, v205, v153
	s_delay_alu instid0(VALU_DEP_4) | instskip(NEXT) | instid1(VALU_DEP_4)
	v_add_f32_e32 v73, v92, v73
	v_fma_f32 v92, 0x3df6dbef, v60, -v98
	v_add_f32_e32 v75, v75, v174
	v_sub_f32_e32 v69, v173, v69
	v_dual_add_f32 v62, v62, v5 :: v_dual_add_f32 v53, v53, v164
	s_delay_alu instid0(VALU_DEP_4) | instskip(SKIP_2) | instid1(VALU_DEP_4)
	v_dual_add_f32 v46, v92, v73 :: v_dual_mul_f32 v171, 0xbf788fa5, v30
	v_mul_f32_e32 v172, 0xbf788fa5, v31
	v_dual_mul_f32 v193, 0x3df6dbef, v39 :: v_dual_mul_f32 v194, 0x3df6dbef, v40
	v_dual_add_f32 v62, v75, v62 :: v_dual_add_f32 v75, v85, v184
	v_dual_mul_f32 v181, 0xbeb58ec6, v33 :: v_dual_mul_f32 v182, 0xbeb58ec6, v35
	v_dual_mul_f32 v203, 0xbf788fa5, v50 :: v_dual_mul_f32 v204, 0xbf788fa5, v51
	s_delay_alu instid0(VALU_DEP_3)
	v_dual_add_f32 v53, v53, v5 :: v_dual_add_f32 v62, v75, v62
	v_dual_add_f32 v75, v96, v194 :: v_dual_sub_f32 v44, v163, v44
	v_add_f32_e32 v65, v65, v172
	v_dual_mul_f32 v191, 0x3f62ad3f, v39 :: v_dual_mul_f32 v192, 0x3f62ad3f, v40
	v_dual_add_f32 v74, v81, v74 :: v_dual_add_f32 v81, v158, v212
	v_sub_f32_e32 v58, v165, v58
	v_add_f32_e32 v62, v75, v62
	v_add_f32_e32 v75, v139, v204
	;; [unrolled: 1-line block ×3, first 2 shown]
	v_dual_add_f32 v65, v79, v182 :: v_dual_add_f32 v44, v44, v4
	v_dual_mul_f32 v213, 0xbf3f9e67, v60 :: v_dual_mul_f32 v214, 0xbf3f9e67, v66
	v_dual_add_f32 v74, v81, v74 :: v_dual_add_f32 v73, v146, v87
	v_dual_sub_f32 v81, v217, v157 :: v_dual_add_f32 v62, v75, v62
	s_delay_alu instid0(VALU_DEP_4) | instskip(SKIP_1) | instid1(VALU_DEP_3)
	v_add_f32_e32 v53, v65, v53
	v_add_f32_e32 v65, v91, v192
	v_dual_add_f32 v58, v58, v4 :: v_dual_add_f32 v73, v81, v73
	v_dual_mul_f32 v52, 0x3f116cb1, v29 :: v_dual_mul_f32 v201, 0x3f116cb1, v50
	v_dual_mul_f32 v169, 0xbeb58ec6, v30 :: v_dual_mul_f32 v170, 0xbeb58ec6, v31
	s_delay_alu instid0(VALU_DEP_3) | instskip(NEXT) | instid1(VALU_DEP_3)
	v_dual_add_f32 v58, v69, v58 :: v_dual_add_f32 v75, v152, v216
	v_dual_sub_f32 v69, v183, v82 :: v_dual_add_f32 v42, v42, v52
	v_dual_sub_f32 v57, v171, v57 :: v_dual_mul_f32 v162, 0x3f116cb1, v28
	v_mul_f32_e32 v167, 0x3f116cb1, v30
	s_delay_alu instid0(VALU_DEP_3) | instskip(NEXT) | instid1(VALU_DEP_3)
	v_add_f32_e32 v58, v69, v58
	v_dual_add_f32 v79, v100, v202 :: v_dual_add_f32 v44, v57, v44
	v_add_f32_e32 v55, v55, v170
	v_add_f32_e32 v65, v65, v53
	v_sub_f32_e32 v69, v193, v94
	v_sub_f32_e32 v37, v162, v37
	v_dual_mul_f32 v179, 0xbf788fa5, v33 :: v_dual_mul_f32 v180, 0xbf788fa5, v35
	v_sub_f32_e32 v57, v181, v64
	s_delay_alu instid0(VALU_DEP_4) | instskip(NEXT) | instid1(VALU_DEP_4)
	v_dual_add_f32 v58, v69, v58 :: v_dual_sub_f32 v69, v203, v137
	v_add_f32_e32 v37, v37, v4
	v_sub_f32_e32 v45, v169, v45
	v_dual_mul_f32 v189, 0xbf3f9e67, v39 :: v_dual_mul_f32 v190, 0xbf3f9e67, v40
	s_delay_alu instid0(VALU_DEP_4) | instskip(SKIP_2) | instid1(VALU_DEP_2)
	v_add_f32_e32 v58, v69, v58
	v_dual_sub_f32 v69, v215, v150 :: v_dual_add_f32 v42, v42, v5
	v_dual_add_f32 v53, v75, v62 :: v_dual_add_f32 v44, v57, v44
	v_dual_sub_f32 v57, v191, v77 :: v_dual_add_f32 v52, v69, v58
	v_add_f32_e32 v37, v45, v37
	v_dual_sub_f32 v45, v179, v59 :: v_dual_mul_f32 v160, 0x3f62ad3f, v28
	v_dual_mul_f32 v161, 0x3f62ad3f, v29 :: v_dual_add_f32 v62, v140, v214
	s_delay_alu instid0(VALU_DEP_4)
	v_add_f32_e32 v44, v57, v44
	v_add_f32_e32 v42, v55, v42
	v_dual_add_f32 v58, v79, v65 :: v_dual_add_f32 v55, v61, v180
	v_dual_add_f32 v37, v45, v37 :: v_dual_add_f32 v38, v38, v168
	v_sub_f32_e32 v45, v189, v72
	v_dual_mul_f32 v187, 0xbeb58ec6, v39 :: v_dual_mul_f32 v188, 0xbeb58ec6, v40
	v_dual_mul_f32 v199, 0x3df6dbef, v50 :: v_dual_mul_f32 v200, 0x3df6dbef, v51
	v_dual_sub_f32 v57, v201, v90 :: v_dual_sub_f32 v32, v160, v32
	s_delay_alu instid0(VALU_DEP_4)
	v_dual_add_f32 v37, v45, v37 :: v_dual_sub_f32 v36, v167, v36
	v_add_f32_e32 v45, v62, v58
	v_add_f32_e32 v58, v34, v161
	;; [unrolled: 1-line block ×3, first 2 shown]
	v_dual_add_f32 v55, v76, v190 :: v_dual_add_f32 v44, v57, v44
	v_dual_mul_f32 v210, 0x3f62ad3f, v60 :: v_dual_mul_f32 v211, 0x3f62ad3f, v66
	v_dual_sub_f32 v57, v213, v101 :: v_dual_add_f32 v32, v32, v4
	s_delay_alu instid0(VALU_DEP_3) | instskip(SKIP_1) | instid1(VALU_DEP_3)
	v_dual_add_f32 v42, v55, v42 :: v_dual_add_f32 v55, v89, v200
	v_dual_mul_f32 v177, 0x3df6dbef, v33 :: v_dual_mul_f32 v178, 0x3df6dbef, v35
	v_add_f32_e32 v44, v57, v44
	v_sub_f32_e32 v59, v199, v88
	s_delay_alu instid0(VALU_DEP_4) | instskip(SKIP_3) | instid1(VALU_DEP_3)
	v_add_f32_e32 v42, v55, v42
	v_dual_add_f32 v55, v99, v211 :: v_dual_add_f32 v6, v6, v4
	v_dual_mul_f32 v197, 0xbf3f9e67, v50 :: v_dual_mul_f32 v198, 0xbf3f9e67, v51
	v_fmac_f32_e32 v218, 0xbf788fa5, v28
	v_add_f32_e32 v34, v55, v42
	v_add_f32_e32 v42, v58, v5
	v_dual_sub_f32 v55, v210, v95 :: v_dual_add_f32 v6, v24, v6
	v_add_f32_e32 v24, v56, v188
	v_add_f32_e32 v4, v218, v4
	s_delay_alu instid0(VALU_DEP_4) | instskip(SKIP_4) | instid1(VALU_DEP_3)
	v_add_f32_e32 v38, v38, v42
	v_add_f32_e32 v42, v43, v178
	v_dual_add_f32 v7, v7, v5 :: v_dual_add_f32 v6, v26, v6
	v_fmac_f32_e32 v86, 0x3f62ad3f, v30
	v_fmac_f32_e32 v138, 0x3f116cb1, v39
	v_dual_fmac_f32 v102, 0xbeb58ec6, v50 :: v_dual_add_f32 v7, v25, v7
	v_dual_add_f32 v25, v36, v32 :: v_dual_sub_f32 v32, v177, v41
	v_dual_add_f32 v37, v59, v37 :: v_dual_add_f32 v6, v20, v6
	s_delay_alu instid0(VALU_DEP_3) | instskip(NEXT) | instid1(VALU_DEP_3)
	v_dual_add_f32 v7, v27, v7 :: v_dual_add_f32 v36, v42, v38
	v_add_f32_e32 v25, v32, v25
	v_dual_sub_f32 v27, v187, v54 :: v_dual_sub_f32 v20, v197, v63
	s_delay_alu instid0(VALU_DEP_3) | instskip(NEXT) | instid1(VALU_DEP_4)
	v_dual_add_f32 v7, v21, v7 :: v_dual_add_f32 v6, v22, v6
	v_dual_add_f32 v21, v24, v36 :: v_dual_sub_f32 v22, v207, v78
	v_add_f32_e32 v24, v67, v198
	s_delay_alu instid0(VALU_DEP_3) | instskip(NEXT) | instid1(VALU_DEP_4)
	v_dual_add_f32 v25, v27, v25 :: v_dual_add_f32 v16, v16, v6
	v_add_f32_e32 v7, v23, v7
	v_dual_add_f32 v23, v83, v209 :: v_dual_add_f32 v4, v86, v4
	s_delay_alu instid0(VALU_DEP_3) | instskip(SKIP_1) | instid1(VALU_DEP_4)
	v_add_f32_e32 v20, v20, v25
	v_add_f32_e32 v21, v24, v21
	v_dual_add_f32 v17, v17, v7 :: v_dual_add_f32 v16, v18, v16
	v_fmac_f32_e32 v98, 0x3df6dbef, v60
	s_delay_alu instid0(VALU_DEP_3) | instskip(NEXT) | instid1(VALU_DEP_3)
	v_dual_add_f32 v6, v22, v20 :: v_dual_add_f32 v7, v23, v21
	v_add_f32_e32 v17, v19, v17
	v_fma_f32 v19, 0xbf788fa5, v29, -v84
	s_delay_alu instid0(VALU_DEP_2) | instskip(NEXT) | instid1(VALU_DEP_2)
	v_dual_add_f32 v12, v12, v16 :: v_dual_add_f32 v13, v13, v17
	v_add_f32_e32 v5, v19, v5
	v_fma_f32 v17, 0x3f62ad3f, v31, -v93
	s_delay_alu instid0(VALU_DEP_3) | instskip(NEXT) | instid1(VALU_DEP_4)
	v_dual_add_f32 v12, v14, v12 :: v_dual_fmac_f32 v97, 0xbf3f9e67, v33
	v_add_f32_e32 v13, v15, v13
	v_fma_f32 v15, 0xbf3f9e67, v35, -v103
	s_delay_alu instid0(VALU_DEP_3) | instskip(NEXT) | instid1(VALU_DEP_4)
	v_dual_add_f32 v5, v17, v5 :: v_dual_add_f32 v8, v8, v12
	v_add_f32_e32 v4, v97, v4
	s_delay_alu instid0(VALU_DEP_4) | instskip(SKIP_1) | instid1(VALU_DEP_4)
	v_add_f32_e32 v9, v9, v13
	v_fma_f32 v13, 0x3f116cb1, v40, -v149
	v_add_f32_e32 v5, v15, v5
	v_fma_f32 v12, 0xbeb58ec6, v51, -v156
	s_delay_alu instid0(VALU_DEP_4) | instskip(NEXT) | instid1(VALU_DEP_3)
	v_dual_add_f32 v4, v138, v4 :: v_dual_add_f32 v9, v11, v9
	v_dual_add_f32 v8, v10, v8 :: v_dual_add_f32 v11, v13, v5
	v_fma_f32 v10, 0x3df6dbef, v66, -v159
	v_add_f32_e32 v33, v55, v37
	s_delay_alu instid0(VALU_DEP_4) | instskip(NEXT) | instid1(VALU_DEP_4)
	v_add_f32_e32 v5, v49, v9
	v_add_f32_e32 v9, v12, v11
	v_add_f32_e32 v11, v102, v4
	v_add_f32_e32 v4, v48, v8
	v_lshl_add_u32 v12, v145, 3, v144
	s_delay_alu instid0(VALU_DEP_4) | instskip(NEXT) | instid1(VALU_DEP_4)
	v_add_f32_e32 v9, v10, v9
	v_add_f32_e32 v8, v98, v11
	ds_store_2addr_b64 v12, v[4:5], v[6:7] offset1:1
	ds_store_2addr_b64 v12, v[33:34], v[44:45] offset0:2 offset1:3
	ds_store_2addr_b64 v12, v[52:53], v[73:74] offset0:4 offset1:5
	;; [unrolled: 1-line block ×5, first 2 shown]
	ds_store_b64 v12, v[2:3] offset:96
.LBB0_7:
	s_wait_alu 0xfffe
	s_or_b32 exec_lo, exec_lo, s2
	v_lshlrev_b32_e32 v4, 4, v143
	v_add_nc_u16 v8, v143, 26
	global_wb scope:SCOPE_SE
	s_wait_dscnt 0x0
	s_barrier_signal -1
	s_barrier_wait -1
	global_inv scope:SCOPE_SE
	global_load_b128 v[4:7], v4, s[0:1]
	v_add_nc_u16 v9, v143, 39
	v_and_b32_e32 v10, 0xff, v8
	v_add_nc_u16 v11, v143, 52
	v_add_nc_u16 v13, v143, 0x41
	;; [unrolled: 1-line block ×3, first 2 shown]
	v_and_b32_e32 v12, 0xff, v9
	v_mul_lo_u16 v10, 0x4f, v10
	v_mad_co_u64_u32 v[74:75], null, v143, 48, s[0:1]
	v_lshl_add_u32 v152, v68, 3, v80
	s_delay_alu instid0(VALU_DEP_4) | instskip(NEXT) | instid1(VALU_DEP_4)
	v_mul_lo_u16 v12, 0x4f, v12
	v_lshrrev_b16 v10, 10, v10
	s_delay_alu instid0(VALU_DEP_2) | instskip(NEXT) | instid1(VALU_DEP_2)
	v_lshrrev_b16 v12, 10, v12
	v_mul_lo_u16 v10, v10, 13
	s_delay_alu instid0(VALU_DEP_2) | instskip(NEXT) | instid1(VALU_DEP_2)
	v_mul_lo_u16 v12, v12, 13
	v_sub_nc_u16 v69, v8, v10
	s_delay_alu instid0(VALU_DEP_2) | instskip(NEXT) | instid1(VALU_DEP_2)
	v_sub_nc_u16 v76, v9, v12
	v_lshlrev_b16 v9, 1, v69
	v_and_b32_e32 v69, 0xff, v69
	s_delay_alu instid0(VALU_DEP_2) | instskip(NEXT) | instid1(VALU_DEP_2)
	v_and_b32_e32 v9, 0xfe, v9
	v_lshl_add_u32 v148, v69, 3, v144
	s_delay_alu instid0(VALU_DEP_2) | instskip(SKIP_4) | instid1(VALU_DEP_3)
	v_lshlrev_b32_e32 v9, 3, v9
	global_load_b128 v[24:27], v9, s[0:1]
	v_and_b32_e32 v14, 0xff, v11
	v_and_b32_e32 v16, 0xff, v13
	;; [unrolled: 1-line block ×3, first 2 shown]
	v_mul_lo_u16 v14, 0x4f, v14
	s_delay_alu instid0(VALU_DEP_3) | instskip(NEXT) | instid1(VALU_DEP_3)
	v_mul_lo_u16 v16, 0x4f, v16
	v_mul_lo_u16 v8, 0x4f, v17
	s_delay_alu instid0(VALU_DEP_3) | instskip(NEXT) | instid1(VALU_DEP_3)
	v_lshrrev_b16 v14, 10, v14
	v_lshrrev_b16 v10, 10, v16
	s_delay_alu instid0(VALU_DEP_3) | instskip(NEXT) | instid1(VALU_DEP_3)
	v_lshrrev_b16 v8, 10, v8
	v_mul_lo_u16 v14, v14, 13
	s_delay_alu instid0(VALU_DEP_3) | instskip(NEXT) | instid1(VALU_DEP_3)
	v_mul_lo_u16 v10, v10, 13
	v_mul_lo_u16 v8, v8, 13
	s_delay_alu instid0(VALU_DEP_3) | instskip(NEXT) | instid1(VALU_DEP_3)
	v_sub_nc_u16 v77, v11, v14
	v_sub_nc_u16 v78, v13, v10
	s_delay_alu instid0(VALU_DEP_3) | instskip(SKIP_1) | instid1(VALU_DEP_4)
	v_sub_nc_u16 v79, v15, v8
	v_lshlrev_b16 v11, 1, v76
	v_lshlrev_b16 v10, 1, v77
	s_delay_alu instid0(VALU_DEP_4) | instskip(NEXT) | instid1(VALU_DEP_4)
	v_lshlrev_b16 v8, 1, v78
	v_lshlrev_b16 v9, 1, v79
	s_delay_alu instid0(VALU_DEP_4) | instskip(NEXT) | instid1(VALU_DEP_4)
	v_and_b32_e32 v11, 0xfe, v11
	v_and_b32_e32 v10, 0xfe, v10
	s_delay_alu instid0(VALU_DEP_4) | instskip(NEXT) | instid1(VALU_DEP_4)
	v_and_b32_e32 v8, 0xfe, v8
	v_and_b32_e32 v9, 0xfe, v9
	s_delay_alu instid0(VALU_DEP_4) | instskip(NEXT) | instid1(VALU_DEP_4)
	v_lshlrev_b32_e32 v11, 3, v11
	v_lshlrev_b32_e32 v10, 3, v10
	s_delay_alu instid0(VALU_DEP_4) | instskip(NEXT) | instid1(VALU_DEP_4)
	v_lshlrev_b32_e32 v8, 3, v8
	v_lshlrev_b32_e32 v9, 3, v9
	s_clause 0x3
	global_load_b128 v[20:23], v11, s[0:1]
	global_load_b128 v[16:19], v10, s[0:1]
	;; [unrolled: 1-line block ×4, first 2 shown]
	ds_load_2addr_b64 v[28:31], v141 offset1:13
	ds_load_2addr_b64 v[32:35], v141 offset0:78 offset1:91
	ds_load_2addr_b64 v[36:39], v141 offset0:182 offset1:195
	;; [unrolled: 1-line block ×9, first 2 shown]
	ds_load_b64 v[72:73], v141 offset:2080
	v_and_b32_e32 v78, 0xff, v78
	global_wb scope:SCOPE_SE
	s_wait_loadcnt_dscnt 0x0
	s_barrier_signal -1
	s_barrier_wait -1
	global_inv scope:SCOPE_SE
	v_lshl_add_u32 v147, v78, 3, v144
	s_add_nc_u64 s[0:1], s[12:13], 0x888
	v_mul_f32_e32 v81, v40, v5
	v_mul_f32_e32 v83, v38, v7
	;; [unrolled: 1-line block ×5, first 2 shown]
	v_fmac_f32_e32 v81, v41, v4
	v_fmac_f32_e32 v83, v39, v6
	v_dual_fmac_f32 v78, v37, v6 :: v_dual_and_b32 v77, 0xff, v77
	s_delay_alu instid0(VALU_DEP_3) | instskip(NEXT) | instid1(VALU_DEP_2)
	v_dual_add_f32 v84, v31, v81 :: v_dual_and_b32 v79, 0xff, v79
	v_lshl_add_u32 v150, v77, 3, v144
	v_mul_f32_e32 v77, v37, v7
	v_fma_f32 v37, v38, v6, -v82
	v_and_b32_e32 v76, 0xff, v76
	v_lshl_add_u32 v146, v79, 3, v144
	v_mul_f32_e32 v79, v41, v5
	v_sub_f32_e32 v82, v81, v83
	s_delay_alu instid0(VALU_DEP_4) | instskip(SKIP_2) | instid1(VALU_DEP_2)
	v_lshl_add_u32 v149, v76, 3, v144
	v_mul_f32_e32 v76, v34, v5
	v_fma_f32 v34, v34, v4, -v69
	v_fmac_f32_e32 v76, v35, v4
	v_fma_f32 v35, v36, v6, -v77
	v_fma_f32 v36, v40, v4, -v79
	s_delay_alu instid0(VALU_DEP_4) | instskip(NEXT) | instid1(VALU_DEP_4)
	v_add_f32_e32 v38, v28, v34
	v_add_f32_e32 v69, v76, v78
	s_delay_alu instid0(VALU_DEP_4) | instskip(NEXT) | instid1(VALU_DEP_4)
	v_add_f32_e32 v39, v34, v35
	v_add_f32_e32 v79, v36, v37
	v_dual_sub_f32 v40, v76, v78 :: v_dual_add_f32 v41, v29, v76
	v_sub_f32_e32 v76, v34, v35
	s_delay_alu instid0(VALU_DEP_4)
	v_fma_f32 v28, -0.5, v39, v28
	v_add_f32_e32 v81, v81, v83
	v_fma_f32 v29, -0.5, v69, v29
	v_add_f32_e32 v77, v30, v36
	v_dual_sub_f32 v85, v36, v37 :: v_dual_add_f32 v34, v38, v35
	v_fma_f32 v30, -0.5, v79, v30
	v_fmamk_f32 v38, v40, 0x3f5db3d7, v28
	v_dual_fmac_f32 v28, 0xbf5db3d7, v40 :: v_dual_fmac_f32 v31, -0.5, v81
	s_delay_alu instid0(VALU_DEP_3)
	v_dual_add_f32 v35, v41, v78 :: v_dual_fmamk_f32 v40, v82, 0x3f5db3d7, v30
	v_dual_fmamk_f32 v39, v76, 0xbf5db3d7, v29 :: v_dual_add_f32 v36, v77, v37
	v_add_f32_e32 v37, v84, v83
	v_fmac_f32_e32 v29, 0x3f5db3d7, v76
	v_dual_fmac_f32 v30, 0xbf5db3d7, v82 :: v_dual_fmamk_f32 v41, v85, 0xbf5db3d7, v31
	v_fmac_f32_e32 v31, 0x3f5db3d7, v85
	ds_store_2addr_b64 v141, v[34:35], v[38:39] offset1:13
	ds_store_2addr_b64 v141, v[28:29], v[36:37] offset0:26 offset1:39
	ds_store_2addr_b64 v141, v[40:41], v[30:31] offset0:52 offset1:65
	v_dual_mul_f32 v31, v48, v27 :: v_dual_mul_f32 v28, v43, v25
	v_dual_mul_f32 v29, v42, v25 :: v_dual_mul_f32 v30, v49, v27
	s_delay_alu instid0(VALU_DEP_2) | instskip(NEXT) | instid1(VALU_DEP_2)
	v_fma_f32 v28, v42, v24, -v28
	v_fma_f32 v30, v48, v26, -v30
	v_mul_f32_e32 v34, v53, v21
	v_dual_mul_f32 v35, v52, v21 :: v_dual_mul_f32 v78, v62, v15
	v_dual_mul_f32 v37, v50, v23 :: v_dual_mul_f32 v38, v55, v17
	;; [unrolled: 1-line block ×4, first 2 shown]
	s_delay_alu instid0(VALU_DEP_4)
	v_dual_mul_f32 v41, v60, v19 :: v_dual_fmac_f32 v78, v63, v14
	v_mul_f32_e32 v82, v73, v11
	v_fma_f32 v34, v52, v20, -v34
	v_dual_mul_f32 v83, v72, v11 :: v_dual_fmac_f32 v76, v65, v12
	v_fmac_f32_e32 v35, v53, v20
	v_fmac_f32_e32 v39, v55, v16
	;; [unrolled: 1-line block ×3, first 2 shown]
	v_dual_mul_f32 v36, v51, v23 :: v_dual_mul_f32 v69, v65, v13
	v_fmac_f32_e32 v31, v49, v26
	v_fma_f32 v38, v54, v16, -v38
	v_fmac_f32_e32 v29, v43, v24
	v_fma_f32 v40, v60, v18, -v40
	v_fma_f32 v43, v62, v14, -v77
	;; [unrolled: 1-line block ×3, first 2 shown]
	v_add_f32_e32 v60, v46, v34
	v_dual_fmac_f32 v83, v73, v10 :: v_dual_add_f32 v84, v59, v76
	v_sub_f32_e32 v82, v76, v78
	v_add_f32_e32 v76, v76, v78
	v_add_f32_e32 v72, v57, v39
	v_sub_f32_e32 v62, v35, v37
	v_dual_mul_f32 v79, v67, v9 :: v_dual_sub_f32 v52, v29, v31
	v_mul_f32_e32 v81, v66, v9
	v_fma_f32 v36, v50, v22, -v36
	v_fmac_f32_e32 v41, v61, v18
	s_delay_alu instid0(VALU_DEP_4)
	v_fma_f32 v48, v66, v8, -v79
	v_add_f32_e32 v50, v44, v28
	v_fma_f32 v42, v64, v12, -v69
	v_add_f32_e32 v64, v35, v37
	v_add_f32_e32 v66, v56, v38
	v_dual_add_f32 v54, v29, v31 :: v_dual_fmac_f32 v81, v67, v8
	v_add_f32_e32 v86, v48, v49
	v_add_f32_e32 v51, v28, v30
	v_sub_f32_e32 v69, v39, v41
	v_add_f32_e32 v77, v58, v42
	v_add_f32_e32 v61, v34, v36
	;; [unrolled: 1-line block ×3, first 2 shown]
	v_sub_f32_e32 v55, v28, v30
	v_dual_add_f32 v63, v47, v35 :: v_dual_add_f32 v28, v50, v30
	v_add_f32_e32 v67, v38, v40
	v_dual_add_f32 v79, v42, v43 :: v_dual_add_f32 v88, v33, v81
	v_fma_f32 v30, -0.5, v51, v44
	v_sub_f32_e32 v65, v34, v36
	v_dual_add_f32 v39, v39, v41 :: v_dual_add_f32 v34, v60, v36
	v_sub_f32_e32 v73, v38, v40
	v_add_f32_e32 v36, v66, v40
	v_add_f32_e32 v40, v77, v43
	v_fma_f32 v46, -0.5, v61, v46
	v_sub_f32_e32 v87, v81, v83
	v_add_f32_e32 v81, v81, v83
	v_dual_sub_f32 v85, v42, v43 :: v_dual_add_f32 v42, v32, v48
	v_add_f32_e32 v29, v53, v31
	v_fma_f32 v31, -0.5, v54, v45
	v_fmac_f32_e32 v47, -0.5, v64
	v_fma_f32 v58, -0.5, v79, v58
	v_sub_f32_e32 v89, v48, v49
	v_fmamk_f32 v44, v52, 0x3f5db3d7, v30
	v_fmac_f32_e32 v30, 0xbf5db3d7, v52
	v_fma_f32 v39, -0.5, v39, v57
	v_fmamk_f32 v52, v82, 0x3f5db3d7, v58
	v_fmamk_f32 v48, v62, 0x3f5db3d7, v46
	v_fmac_f32_e32 v46, 0xbf5db3d7, v62
	v_fma_f32 v38, -0.5, v67, v56
	v_fmac_f32_e32 v59, -0.5, v76
	v_fma_f32 v32, -0.5, v86, v32
	v_fmac_f32_e32 v33, -0.5, v81
	v_dual_fmamk_f32 v45, v55, 0xbf5db3d7, v31 :: v_dual_add_f32 v42, v42, v49
	v_add_f32_e32 v35, v63, v37
	v_fmamk_f32 v49, v65, 0xbf5db3d7, v47
	v_dual_add_f32 v37, v72, v41 :: v_dual_fmamk_f32 v50, v69, 0x3f5db3d7, v38
	v_fmamk_f32 v51, v73, 0xbf5db3d7, v39
	v_dual_add_f32 v41, v84, v78 :: v_dual_fmamk_f32 v54, v87, 0x3f5db3d7, v32
	v_fmamk_f32 v53, v85, 0xbf5db3d7, v59
	v_add_f32_e32 v43, v88, v83
	v_fmac_f32_e32 v31, 0x3f5db3d7, v55
	v_fmac_f32_e32 v47, 0x3f5db3d7, v65
	;; [unrolled: 1-line block ×6, first 2 shown]
	v_dual_fmac_f32 v32, 0xbf5db3d7, v87 :: v_dual_fmamk_f32 v55, v89, 0xbf5db3d7, v33
	v_fmac_f32_e32 v33, 0x3f5db3d7, v89
	ds_store_2addr_b64 v148, v[28:29], v[44:45] offset0:78 offset1:91
	ds_store_2addr_b64 v149, v[34:35], v[48:49] offset0:117 offset1:130
	;; [unrolled: 1-line block ×4, first 2 shown]
	ds_store_b64 v148, v[30:31] offset:832
	ds_store_b64 v149, v[46:47] offset:1144
	;; [unrolled: 1-line block ×4, first 2 shown]
	ds_store_2addr_b64 v146, v[42:43], v[54:55] offset0:234 offset1:247
	ds_store_b64 v146, v[32:33] offset:2080
	global_wb scope:SCOPE_SE
	s_wait_dscnt 0x0
	s_barrier_signal -1
	s_barrier_wait -1
	global_inv scope:SCOPE_SE
	s_clause 0x8
	global_load_b128 v[56:59], v[74:75], off offset:208
	global_load_b128 v[44:47], v[74:75], off offset:224
	;; [unrolled: 1-line block ×9, first 2 shown]
	ds_load_2addr_b64 v[64:67], v141 offset0:26 offset1:39
	ds_load_2addr_b64 v[72:75], v141 offset0:78 offset1:91
	;; [unrolled: 1-line block ×8, first 2 shown]
	ds_load_2addr_b64 v[137:140], v141 offset1:13
	ds_load_2addr_b64 v[153:156], v141 offset0:208 offset1:221
	ds_load_b64 v[68:69], v141 offset:2080
	s_wait_loadcnt_dscnt 0x80a
	v_dual_mul_f32 v102, v66, v57 :: v_dual_add_nc_u32 v103, 0x400, v152
	s_wait_dscnt 0x9
	v_mul_f32_e32 v157, v73, v59
	v_dual_mul_f32 v158, v72, v59 :: v_dual_mul_f32 v101, v67, v57
	s_wait_loadcnt_dscnt 0x708
	v_mul_f32_e32 v160, v78, v45
	s_wait_dscnt 0x7
	v_dual_mul_f32 v162, v81, v47 :: v_dual_mul_f32 v159, v79, v45
	s_wait_loadcnt_dscnt 0x605
	v_dual_mul_f32 v164, v87, v29 :: v_dual_mul_f32 v165, v90, v31
	v_dual_mul_f32 v166, v89, v31 :: v_dual_mul_f32 v163, v88, v29
	v_dual_mul_f32 v161, v82, v47 :: v_dual_fmac_f32 v160, v79, v44
	s_wait_loadcnt_dscnt 0x504
	v_dual_mul_f32 v168, v93, v61 :: v_dual_mul_f32 v169, v75, v63
	v_mul_f32_e32 v170, v74, v63
	v_mul_f32_e32 v167, v94, v61
	s_wait_loadcnt_dscnt 0x403
	v_dual_mul_f32 v172, v97, v49 :: v_dual_mul_f32 v173, v84, v51
	v_mul_f32_e32 v174, v83, v51
	s_wait_loadcnt_dscnt 0x301
	v_dual_mul_f32 v176, v153, v33 :: v_dual_mul_f32 v177, v92, v35
	v_dual_mul_f32 v178, v91, v35 :: v_dual_mul_f32 v175, v154, v33
	s_delay_alu instid0(VALU_DEP_3)
	v_dual_mul_f32 v171, v98, v49 :: v_dual_fmac_f32 v174, v84, v50
	s_wait_loadcnt 0x2
	v_dual_mul_f32 v180, v95, v53 :: v_dual_mul_f32 v181, v77, v55
	v_mul_f32_e32 v182, v76, v55
	v_mul_f32_e32 v179, v96, v53
	s_wait_loadcnt 0x1
	v_dual_mul_f32 v184, v99, v41 :: v_dual_mul_f32 v185, v86, v43
	v_dual_mul_f32 v186, v85, v43 :: v_dual_mul_f32 v183, v100, v41
	s_wait_loadcnt_dscnt 0x0
	v_dual_mul_f32 v188, v155, v37 :: v_dual_mul_f32 v189, v69, v39
	v_mul_f32_e32 v190, v68, v39
	v_dual_mul_f32 v187, v156, v37 :: v_dual_fmac_f32 v102, v67, v56
	v_fma_f32 v67, v72, v58, -v157
	v_fmac_f32_e32 v158, v73, v58
	s_delay_alu instid0(VALU_DEP_4)
	v_fmac_f32_e32 v190, v69, v38
	v_fma_f32 v66, v66, v56, -v101
	v_fmac_f32_e32 v162, v82, v46
	v_fma_f32 v72, v78, v44, -v159
	;; [unrolled: 2-line block ×4, first 2 shown]
	v_fma_f32 v73, v81, v46, -v161
	v_fmac_f32_e32 v168, v94, v60
	v_fma_f32 v74, v74, v62, -v169
	v_fmac_f32_e32 v170, v75, v62
	;; [unrolled: 2-line block ×5, first 2 shown]
	v_fma_f32 v83, v153, v32, -v175
	v_fma_f32 v75, v97, v48, -v171
	v_fmac_f32_e32 v180, v96, v52
	v_fma_f32 v76, v76, v54, -v181
	v_fmac_f32_e32 v182, v77, v54
	v_fma_f32 v87, v95, v52, -v179
	v_fmac_f32_e32 v184, v100, v40
	v_fma_f32 v85, v85, v42, -v185
	v_fmac_f32_e32 v186, v86, v42
	v_fma_f32 v77, v99, v40, -v183
	v_fma_f32 v86, v155, v36, -v187
	v_fmac_f32_e32 v188, v156, v36
	v_fma_f32 v68, v68, v38, -v189
	v_dual_add_f32 v69, v66, v79 :: v_dual_add_f32 v92, v160, v162
	v_dual_add_f32 v88, v102, v166 :: v_dual_add_f32 v91, v72, v73
	v_dual_sub_f32 v66, v66, v79 :: v_dual_add_f32 v89, v67, v78
	v_dual_add_f32 v90, v158, v164 :: v_dual_sub_f32 v67, v67, v78
	v_dual_sub_f32 v79, v102, v166 :: v_dual_sub_f32 v72, v73, v72
	v_dual_sub_f32 v78, v158, v164 :: v_dual_add_f32 v97, v75, v82
	v_dual_sub_f32 v73, v162, v160 :: v_dual_add_f32 v94, v168, v178
	v_add_f32_e32 v93, v81, v84
	v_dual_add_f32 v95, v74, v83 :: v_dual_add_f32 v98, v172, v174
	v_add_f32_e32 v96, v170, v176
	v_dual_sub_f32 v81, v81, v84 :: v_dual_sub_f32 v74, v74, v83
	v_dual_sub_f32 v84, v168, v178 :: v_dual_sub_f32 v83, v170, v176
	v_dual_add_f32 v100, v180, v190 :: v_dual_sub_f32 v75, v82, v75
	v_dual_sub_f32 v82, v174, v172 :: v_dual_add_f32 v101, v76, v86
	v_dual_add_f32 v99, v87, v68 :: v_dual_sub_f32 v76, v76, v86
	v_sub_f32_e32 v68, v87, v68
	v_dual_add_f32 v102, v182, v188 :: v_dual_add_f32 v153, v77, v85
	v_dual_sub_f32 v86, v182, v188 :: v_dual_sub_f32 v77, v85, v77
	v_dual_add_f32 v155, v89, v69 :: v_dual_add_f32 v156, v90, v88
	v_sub_f32_e32 v87, v180, v190
	v_dual_sub_f32 v157, v89, v69 :: v_dual_sub_f32 v158, v90, v88
	v_dual_sub_f32 v89, v91, v89 :: v_dual_sub_f32 v90, v92, v90
	v_dual_add_f32 v159, v72, v67 :: v_dual_add_f32 v160, v73, v78
	v_dual_sub_f32 v161, v72, v67 :: v_dual_sub_f32 v162, v73, v78
	v_dual_sub_f32 v67, v67, v66 :: v_dual_sub_f32 v78, v78, v79
	v_dual_add_f32 v163, v95, v93 :: v_dual_add_f32 v164, v96, v94
	v_dual_add_f32 v154, v184, v186 :: v_dual_sub_f32 v85, v186, v184
	v_dual_sub_f32 v69, v69, v91 :: v_dual_sub_f32 v88, v88, v92
	v_dual_sub_f32 v165, v95, v93 :: v_dual_sub_f32 v166, v96, v94
	;; [unrolled: 1-line block ×4, first 2 shown]
	v_dual_add_f32 v167, v75, v74 :: v_dual_add_f32 v168, v82, v83
	v_dual_sub_f32 v169, v75, v74 :: v_dual_sub_f32 v170, v82, v83
	v_dual_sub_f32 v171, v84, v82 :: v_dual_sub_f32 v172, v83, v84
	v_dual_add_f32 v82, v101, v99 :: v_dual_add_f32 v83, v102, v100
	v_add_f32_e32 v175, v77, v76
	v_sub_f32_e32 v177, v77, v76
	v_dual_sub_f32 v76, v76, v68 :: v_dual_add_f32 v91, v91, v155
	v_dual_add_f32 v92, v92, v156 :: v_dual_mul_f32 v69, 0x3f4a47b2, v69
	v_dual_sub_f32 v72, v66, v72 :: v_dual_sub_f32 v73, v79, v73
	v_dual_add_f32 v66, v159, v66 :: v_dual_add_f32 v79, v160, v79
	v_mul_f32_e32 v88, 0x3f4a47b2, v88
	v_dual_mul_f32 v155, 0x3d64c772, v89 :: v_dual_mul_f32 v156, 0x3d64c772, v90
	v_dual_mul_f32 v159, 0xbf08b237, v161 :: v_dual_mul_f32 v160, 0xbf08b237, v162
	;; [unrolled: 1-line block ×3, first 2 shown]
	v_dual_add_f32 v97, v97, v163 :: v_dual_add_f32 v98, v98, v164
	v_dual_sub_f32 v75, v81, v75 :: v_dual_sub_f32 v74, v74, v81
	v_dual_sub_f32 v173, v101, v99 :: v_dual_sub_f32 v174, v102, v100
	;; [unrolled: 1-line block ×4, first 2 shown]
	v_dual_add_f32 v176, v85, v86 :: v_dual_sub_f32 v77, v68, v77
	v_dual_sub_f32 v178, v85, v86 :: v_dual_sub_f32 v85, v87, v85
	v_dual_sub_f32 v86, v86, v87 :: v_dual_add_f32 v163, v167, v81
	v_dual_add_f32 v164, v168, v84 :: v_dual_mul_f32 v93, 0x3f4a47b2, v93
	v_mul_f32_e32 v94, 0x3f4a47b2, v94
	v_dual_mul_f32 v167, 0x3d64c772, v95 :: v_dual_mul_f32 v168, 0x3d64c772, v96
	v_dual_mul_f32 v169, 0xbf08b237, v169 :: v_dual_mul_f32 v170, 0xbf08b237, v170
	v_dual_add_f32 v153, v153, v82 :: v_dual_add_f32 v154, v154, v83
	v_dual_mul_f32 v177, 0xbf08b237, v177 :: v_dual_mul_f32 v178, 0xbf08b237, v178
	v_dual_mul_f32 v181, 0x3f5ff5aa, v76 :: v_dual_mul_f32 v182, 0x3f5ff5aa, v86
	v_dual_add_f32 v81, v137, v91 :: v_dual_add_f32 v82, v138, v92
	v_fma_f32 v137, 0x3f3bfb3b, v157, -v155
	v_fma_f32 v138, 0x3f3bfb3b, v158, -v156
	v_dual_fmamk_f32 v155, v72, 0x3eae86e6, v159 :: v_dual_fmamk_f32 v156, v73, 0x3eae86e6, v160
	v_fma_f32 v67, 0x3f5ff5aa, v67, -v159
	v_fma_f32 v78, 0x3f5ff5aa, v78, -v160
	;; [unrolled: 1-line block ×4, first 2 shown]
	v_dual_add_f32 v83, v139, v97 :: v_dual_add_f32 v84, v140, v98
	v_dual_mul_f32 v179, 0x3f5ff5aa, v74 :: v_dual_mul_f32 v180, 0x3f5ff5aa, v172
	v_dual_add_f32 v68, v175, v68 :: v_dual_add_f32 v87, v176, v87
	v_dual_mul_f32 v99, 0x3f4a47b2, v99 :: v_dual_mul_f32 v100, 0x3f4a47b2, v100
	v_dual_mul_f32 v175, 0x3d64c772, v101 :: v_dual_mul_f32 v176, 0x3d64c772, v102
	v_dual_fmamk_f32 v89, v89, 0x3d64c772, v69 :: v_dual_fmamk_f32 v90, v90, 0x3d64c772, v88
	v_fma_f32 v69, 0xbf3bfb3b, v157, -v69
	v_fma_f32 v88, 0xbf3bfb3b, v158, -v88
	v_dual_fmamk_f32 v95, v95, 0x3d64c772, v93 :: v_dual_fmamk_f32 v96, v96, 0x3d64c772, v94
	v_fma_f32 v139, 0x3f3bfb3b, v165, -v167
	v_fma_f32 v93, 0xbf3bfb3b, v165, -v93
	v_dual_fmamk_f32 v157, v75, 0x3eae86e6, v169 :: v_dual_add_f32 v64, v64, v153
	v_dual_fmamk_f32 v158, v171, 0x3eae86e6, v170 :: v_dual_add_f32 v65, v65, v154
	v_fma_f32 v74, 0x3f5ff5aa, v74, -v169
	v_fmamk_f32 v165, v77, 0x3eae86e6, v177
	v_fma_f32 v167, 0x3f5ff5aa, v76, -v177
	v_fma_f32 v169, 0xbeae86e6, v77, -v181
	v_dual_fmamk_f32 v76, v91, 0xbf955555, v81 :: v_dual_fmamk_f32 v77, v92, 0xbf955555, v82
	v_fma_f32 v140, 0x3f3bfb3b, v166, -v168
	v_fma_f32 v159, 0x3f5ff5aa, v172, -v170
	v_dual_fmac_f32 v155, 0x3ee1c552, v66 :: v_dual_fmac_f32 v156, 0x3ee1c552, v79
	v_dual_fmac_f32 v67, 0x3ee1c552, v66 :: v_dual_fmac_f32 v78, 0x3ee1c552, v79
	;; [unrolled: 1-line block ×3, first 2 shown]
	v_dual_fmamk_f32 v66, v97, 0xbf955555, v83 :: v_dual_fmamk_f32 v79, v98, 0xbf955555, v84
	v_fma_f32 v94, 0xbf3bfb3b, v166, -v94
	v_fma_f32 v75, 0xbeae86e6, v75, -v179
	;; [unrolled: 1-line block ×3, first 2 shown]
	v_dual_fmamk_f32 v101, v101, 0x3d64c772, v99 :: v_dual_fmamk_f32 v102, v102, 0x3d64c772, v100
	v_fma_f32 v161, 0x3f3bfb3b, v173, -v175
	v_fma_f32 v162, 0x3f3bfb3b, v174, -v176
	;; [unrolled: 1-line block ×4, first 2 shown]
	v_dual_fmamk_f32 v166, v85, 0x3eae86e6, v178 :: v_dual_add_f32 v97, v90, v77
	v_fma_f32 v168, 0x3f5ff5aa, v86, -v178
	v_fma_f32 v170, 0xbeae86e6, v85, -v182
	v_dual_fmamk_f32 v85, v153, 0xbf955555, v64 :: v_dual_fmamk_f32 v86, v154, 0xbf955555, v65
	s_delay_alu instid0(VALU_DEP_3) | instskip(NEXT) | instid1(VALU_DEP_3)
	v_dual_fmac_f32 v167, 0x3ee1c552, v68 :: v_dual_fmac_f32 v168, 0x3ee1c552, v87
	v_dual_fmac_f32 v169, 0x3ee1c552, v68 :: v_dual_fmac_f32 v170, 0x3ee1c552, v87
	v_dual_add_f32 v92, v138, v77 :: v_dual_fmac_f32 v165, 0x3ee1c552, v68
	v_fmac_f32_e32 v166, 0x3ee1c552, v87
	v_add_f32_e32 v68, v89, v76
	v_add_f32_e32 v91, v137, v76
	v_dual_add_f32 v69, v69, v76 :: v_dual_add_f32 v138, v96, v79
	v_add_f32_e32 v76, v88, v77
	v_dual_fmac_f32 v74, 0x3ee1c552, v163 :: v_dual_fmac_f32 v159, 0x3ee1c552, v164
	v_dual_add_f32 v137, v139, v66 :: v_dual_add_f32 v140, v140, v79
	v_dual_fmac_f32 v157, 0x3ee1c552, v163 :: v_dual_fmac_f32 v158, 0x3ee1c552, v164
	v_dual_fmac_f32 v75, 0x3ee1c552, v163 :: v_dual_fmac_f32 v160, 0x3ee1c552, v164
	v_add_f32_e32 v77, v95, v66
	v_dual_add_f32 v66, v93, v66 :: v_dual_add_f32 v79, v94, v79
	v_dual_add_f32 v163, v101, v85 :: v_dual_add_f32 v164, v102, v86
	;; [unrolled: 1-line block ×4, first 2 shown]
	v_dual_add_f32 v85, v156, v68 :: v_dual_sub_f32 v86, v97, v155
	v_dual_add_f32 v87, v73, v69 :: v_dual_sub_f32 v88, v76, v72
	v_sub_f32_e32 v89, v91, v78
	v_dual_add_f32 v90, v67, v92 :: v_dual_add_f32 v91, v78, v91
	v_dual_sub_f32 v92, v92, v67 :: v_dual_sub_f32 v93, v69, v73
	v_dual_add_f32 v94, v72, v76 :: v_dual_sub_f32 v101, v137, v159
	v_dual_add_f32 v102, v74, v140 :: v_dual_add_f32 v139, v159, v137
	v_sub_f32_e32 v140, v140, v74
	v_dual_sub_f32 v95, v68, v156 :: v_dual_add_f32 v96, v155, v97
	v_dual_add_f32 v97, v158, v77 :: v_dual_sub_f32 v100, v79, v75
	v_dual_sub_f32 v98, v138, v157 :: v_dual_add_f32 v99, v160, v66
	v_dual_sub_f32 v153, v66, v160 :: v_dual_add_f32 v154, v75, v79
	;; [unrolled: 1-line block ×3, first 2 shown]
	v_dual_add_f32 v138, v157, v138 :: v_dual_sub_f32 v67, v164, v165
	v_dual_add_f32 v76, v170, v171 :: v_dual_sub_f32 v77, v172, v169
	v_dual_sub_f32 v78, v161, v168 :: v_dual_add_f32 v79, v167, v162
	v_dual_add_f32 v72, v168, v161 :: v_dual_sub_f32 v73, v162, v167
	v_dual_sub_f32 v74, v171, v170 :: v_dual_add_f32 v75, v169, v172
	v_dual_sub_f32 v68, v163, v166 :: v_dual_add_f32 v69, v165, v164
	ds_store_b64 v141, v[85:86] offset:312
	ds_store_b64 v141, v[87:88] offset:624
	;; [unrolled: 1-line block ×6, first 2 shown]
	ds_store_2addr_b64 v141, v[81:82], v[83:84] offset1:13
	ds_store_b64 v141, v[99:100] offset:728
	ds_store_b64 v141, v[101:102] offset:1040
	;; [unrolled: 1-line block ×7, first 2 shown]
	ds_store_2addr_b64 v152, v[66:67], v[76:77] offset0:65 offset1:104
	ds_store_2addr_b64 v152, v[78:79], v[72:73] offset0:143 offset1:182
	ds_store_2addr_b64 v103, v[74:75], v[68:69] offset0:93 offset1:132
	global_wb scope:SCOPE_SE
	s_wait_dscnt 0x0
	s_barrier_signal -1
	s_barrier_wait -1
	global_inv scope:SCOPE_SE
	s_clause 0xc
	global_load_b64 v[101:102], v[104:105], off offset:2184
	global_load_b64 v[139:140], v80, s[0:1] offset:168
	global_load_b64 v[157:158], v80, s[0:1] offset:336
	;; [unrolled: 1-line block ×12, first 2 shown]
	ds_load_2addr_b64 v[81:84], v141 offset1:21
	ds_load_2addr_b64 v[85:88], v141 offset0:42 offset1:63
	ds_load_2addr_b64 v[89:92], v141 offset0:84 offset1:105
	;; [unrolled: 1-line block ×5, first 2 shown]
	ds_load_b64 v[179:180], v141 offset:2016
	s_wait_loadcnt_dscnt 0xb06
	v_dual_mul_f32 v181, v82, v102 :: v_dual_mul_f32 v182, v83, v140
	v_mul_f32_e32 v103, v81, v102
	s_wait_loadcnt_dscnt 0xa05
	v_dual_mul_f32 v183, v84, v140 :: v_dual_mul_f32 v184, v86, v158
	s_wait_loadcnt 0x9
	v_dual_mul_f32 v140, v85, v158 :: v_dual_mul_f32 v185, v88, v160
	v_mul_f32_e32 v158, v87, v160
	s_wait_loadcnt_dscnt 0x704
	v_dual_mul_f32 v186, v90, v162 :: v_dual_mul_f32 v187, v92, v164
	s_wait_loadcnt_dscnt 0x503
	v_dual_mul_f32 v160, v89, v162 :: v_dual_mul_f32 v189, v96, v168
	v_dual_mul_f32 v162, v91, v164 :: v_dual_fmac_f32 v103, v82, v101
	s_wait_loadcnt_dscnt 0x302
	v_dual_mul_f32 v188, v94, v166 :: v_dual_mul_f32 v191, v100, v172
	s_wait_loadcnt_dscnt 0x101
	v_dual_mul_f32 v164, v93, v166 :: v_dual_mul_f32 v193, v156, v176
	v_mul_f32_e32 v166, v95, v168
	v_mul_f32_e32 v190, v98, v170
	;; [unrolled: 1-line block ×7, first 2 shown]
	s_wait_loadcnt_dscnt 0x0
	v_mul_f32_e32 v194, v180, v178
	v_mul_f32_e32 v176, v179, v178
	v_fma_f32 v102, v81, v101, -v181
	v_fma_f32 v181, v83, v139, -v183
	v_fmac_f32_e32 v182, v84, v139
	v_fma_f32 v139, v85, v157, -v184
	v_fmac_f32_e32 v140, v86, v157
	;; [unrolled: 2-line block ×12, first 2 shown]
	ds_store_2addr_b64 v141, v[102:103], v[181:182] offset1:21
	ds_store_2addr_b64 v141, v[139:140], v[157:158] offset0:42 offset1:63
	ds_store_2addr_b64 v141, v[159:160], v[161:162] offset0:84 offset1:105
	;; [unrolled: 1-line block ×5, first 2 shown]
	ds_store_b64 v141, v[175:176] offset:2016
	s_and_saveexec_b32 s2, vcc_lo
	s_cbranch_execz .LBB0_9
; %bb.8:
	s_wait_alu 0xfffe
	v_add_co_u32 v80, s0, s0, v80
	s_wait_alu 0xf1ff
	v_add_co_ci_u32_e64 v81, null, s1, 0, s0
	s_clause 0xc
	global_load_b64 v[139:140], v[80:81], off offset:104
	global_load_b64 v[153:154], v[80:81], off offset:272
	;; [unrolled: 1-line block ×13, first 2 shown]
	ds_load_2addr_b64 v[80:83], v141 offset0:13 offset1:34
	ds_load_2addr_b64 v[84:87], v141 offset0:55 offset1:76
	;; [unrolled: 1-line block ×6, first 2 shown]
	ds_load_b64 v[177:178], v141 offset:2120
	s_wait_loadcnt_dscnt 0xc06
	v_mul_f32_e32 v179, v81, v140
	s_wait_loadcnt 0xb
	v_dual_mul_f32 v180, v80, v140 :: v_dual_mul_f32 v181, v83, v154
	v_mul_f32_e32 v140, v82, v154
	s_wait_loadcnt_dscnt 0x905
	v_dual_mul_f32 v182, v85, v156 :: v_dual_mul_f32 v183, v87, v158
	s_wait_loadcnt_dscnt 0x704
	v_dual_mul_f32 v154, v84, v156 :: v_dual_mul_f32 v185, v91, v162
	v_mul_f32_e32 v156, v86, v158
	s_wait_loadcnt_dscnt 0x503
	v_dual_mul_f32 v184, v89, v160 :: v_dual_mul_f32 v187, v95, v166
	s_wait_loadcnt_dscnt 0x302
	v_dual_mul_f32 v158, v88, v160 :: v_dual_mul_f32 v189, v99, v170
	v_mul_f32_e32 v160, v90, v162
	s_wait_loadcnt_dscnt 0x101
	v_dual_mul_f32 v186, v93, v164 :: v_dual_mul_f32 v191, v103, v174
	v_mul_f32_e32 v162, v92, v164
	v_mul_f32_e32 v164, v94, v166
	;; [unrolled: 1-line block ×8, first 2 shown]
	s_wait_loadcnt_dscnt 0x0
	v_mul_f32_e32 v192, v178, v176
	v_mul_f32_e32 v174, v177, v176
	v_fma_f32 v179, v80, v139, -v179
	v_fmac_f32_e32 v180, v81, v139
	v_fma_f32 v139, v82, v153, -v181
	v_fmac_f32_e32 v140, v83, v153
	;; [unrolled: 2-line block ×13, first 2 shown]
	ds_store_2addr_b64 v141, v[179:180], v[139:140] offset0:13 offset1:34
	ds_store_2addr_b64 v141, v[153:154], v[155:156] offset0:55 offset1:76
	;; [unrolled: 1-line block ×6, first 2 shown]
	ds_store_b64 v141, v[173:174] offset:2120
.LBB0_9:
	s_wait_alu 0xfffe
	s_or_b32 exec_lo, exec_lo, s2
	global_wb scope:SCOPE_SE
	s_wait_dscnt 0x0
	s_barrier_signal -1
	s_barrier_wait -1
	global_inv scope:SCOPE_SE
	ds_load_2addr_b64 v[100:103], v141 offset1:21
	ds_load_2addr_b64 v[92:95], v141 offset0:42 offset1:63
	ds_load_2addr_b64 v[84:87], v141 offset0:84 offset1:105
	;; [unrolled: 1-line block ×5, first 2 shown]
	ds_load_b64 v[139:140], v141 offset:2016
	s_and_saveexec_b32 s0, vcc_lo
	s_cbranch_execz .LBB0_11
; %bb.10:
	v_lshl_add_u32 v72, v143, 3, v144
	ds_load_2addr_b64 v[68:71], v72 offset0:160 offset1:181
	s_wait_dscnt 0x0
	v_dual_mov_b32 v135, v70 :: v_dual_add_nc_u32 v0, 0x400, v72
	ds_load_2addr_b64 v[153:156], v72 offset0:202 offset1:223
	ds_load_2addr_b64 v[0:3], v0 offset0:116 offset1:137
	ds_load_b64 v[137:138], v141 offset:104
	ds_load_2addr_b64 v[64:67], v72 offset0:34 offset1:55
	ds_load_2addr_b64 v[76:79], v72 offset0:76 offset1:97
	;; [unrolled: 1-line block ×3, first 2 shown]
	s_wait_dscnt 0x5
	v_dual_mov_b32 v136, v71 :: v_dual_mov_b32 v133, v153
	v_dual_mov_b32 v134, v154 :: v_dual_mov_b32 v71, v156
	v_mov_b32_e32 v70, v155
.LBB0_11:
	s_wait_alu 0xfffe
	s_or_b32 exec_lo, exec_lo, s0
	s_wait_dscnt 0x6
	v_dual_add_f32 v153, v100, v102 :: v_dual_add_f32 v154, v101, v103
	s_wait_dscnt 0x0
	v_dual_add_f32 v155, v139, v102 :: v_dual_add_nc_u32 v152, 0xd0, v152
	v_dual_sub_f32 v156, v103, v140 :: v_dual_add_f32 v157, v140, v103
	s_delay_alu instid0(VALU_DEP_3)
	v_dual_add_f32 v153, v153, v92 :: v_dual_add_f32 v154, v154, v93
	v_sub_f32_e32 v158, v102, v139
	global_wb scope:SCOPE_SE
	s_barrier_signal -1
	v_dual_add_f32 v102, v153, v94 :: v_dual_add_f32 v103, v154, v95
	v_mul_f32_e32 v153, 0xbeedf032, v156
	s_barrier_wait -1
	global_inv scope:SCOPE_SE
	v_dual_add_f32 v102, v102, v84 :: v_dual_add_f32 v103, v103, v85
	v_mul_f32_e32 v154, 0x3f62ad3f, v157
	v_mul_f32_e32 v159, 0xbf52af12, v156
	s_delay_alu instid0(VALU_DEP_3) | instskip(NEXT) | instid1(VALU_DEP_4)
	v_dual_mul_f32 v171, 0xbf29c268, v156 :: v_dual_add_f32 v102, v102, v86
	v_add_f32_e32 v103, v103, v87
	s_delay_alu instid0(VALU_DEP_4) | instskip(SKIP_2) | instid1(VALU_DEP_4)
	v_fmamk_f32 v165, v158, 0x3eedf032, v154
	v_fmamk_f32 v164, v155, 0x3f62ad3f, v153
	v_fma_f32 v153, 0x3f62ad3f, v155, -v153
	v_dual_add_f32 v102, v102, v80 :: v_dual_add_f32 v103, v103, v81
	v_mul_f32_e32 v160, 0x3f116cb1, v157
	v_mul_f32_e32 v161, 0xbf7e222b, v156
	s_delay_alu instid0(VALU_DEP_4) | instskip(NEXT) | instid1(VALU_DEP_4)
	v_dual_fmamk_f32 v166, v155, 0x3f116cb1, v159 :: v_dual_add_f32 v153, v100, v153
	v_dual_add_f32 v102, v102, v82 :: v_dual_add_f32 v103, v103, v83
	v_fmac_f32_e32 v154, 0xbeedf032, v158
	v_fma_f32 v159, 0x3f116cb1, v155, -v159
	v_fmamk_f32 v168, v155, 0x3df6dbef, v161
	v_fma_f32 v161, 0x3df6dbef, v155, -v161
	v_add_f32_e32 v103, v103, v89
	v_dual_fmamk_f32 v167, v158, 0x3f52af12, v160 :: v_dual_add_f32 v154, v101, v154
	v_add_f32_e32 v102, v102, v88
	s_delay_alu instid0(VALU_DEP_3) | instskip(NEXT) | instid1(VALU_DEP_3)
	v_dual_mul_f32 v162, 0x3df6dbef, v157 :: v_dual_add_f32 v103, v103, v91
	v_add_f32_e32 v167, v101, v167
	s_delay_alu instid0(VALU_DEP_3) | instskip(NEXT) | instid1(VALU_DEP_3)
	v_dual_mul_f32 v163, 0xbf6f5d39, v156 :: v_dual_add_f32 v102, v102, v90
	v_dual_fmac_f32 v160, 0xbf52af12, v158 :: v_dual_add_f32 v103, v103, v97
	s_delay_alu instid0(VALU_DEP_4) | instskip(NEXT) | instid1(VALU_DEP_3)
	v_dual_fmamk_f32 v169, v158, 0x3f7e222b, v162 :: v_dual_add_f32 v166, v100, v166
	v_add_f32_e32 v102, v102, v96
	s_delay_alu instid0(VALU_DEP_3) | instskip(SKIP_1) | instid1(VALU_DEP_3)
	v_dual_add_f32 v160, v101, v160 :: v_dual_add_f32 v103, v103, v99
	v_dual_mul_f32 v172, 0xbf3f9e67, v157 :: v_dual_fmamk_f32 v173, v155, 0xbf3f9e67, v171
	v_add_f32_e32 v102, v102, v98
	v_mul_f32_e32 v156, 0xbe750f2a, v156
	s_delay_alu instid0(VALU_DEP_4) | instskip(SKIP_1) | instid1(VALU_DEP_4)
	v_add_f32_e32 v103, v103, v140
	v_fma_f32 v171, 0xbf3f9e67, v155, -v171
	v_dual_add_f32 v165, v101, v165 :: v_dual_add_f32 v102, v102, v139
	v_add_f32_e32 v161, v100, v161
	v_fmamk_f32 v139, v155, 0xbeb58ec6, v163
	v_fmac_f32_e32 v162, 0xbf7e222b, v158
	v_fma_f32 v163, 0xbeb58ec6, v155, -v163
	v_mul_f32_e32 v140, 0xbeb58ec6, v157
	v_add_f32_e32 v164, v100, v164
	s_delay_alu instid0(VALU_DEP_4) | instskip(NEXT) | instid1(VALU_DEP_3)
	v_dual_add_f32 v139, v100, v139 :: v_dual_add_f32 v162, v101, v162
	v_dual_add_f32 v163, v100, v163 :: v_dual_fmamk_f32 v170, v158, 0x3f6f5d39, v140
	v_dual_add_f32 v173, v100, v173 :: v_dual_fmac_f32 v140, 0xbf6f5d39, v158
	v_add_f32_e32 v171, v100, v171
	v_dual_mul_f32 v157, 0xbf788fa5, v157 :: v_dual_sub_f32 v176, v93, v99
	s_delay_alu instid0(VALU_DEP_4) | instskip(SKIP_4) | instid1(VALU_DEP_4)
	v_dual_add_f32 v93, v99, v93 :: v_dual_add_f32 v170, v101, v170
	v_fmamk_f32 v175, v155, 0xbf788fa5, v156
	v_fmamk_f32 v174, v158, 0x3f29c268, v172
	v_add_f32_e32 v140, v101, v140
	v_fma_f32 v99, 0xbf788fa5, v155, -v156
	v_dual_fmac_f32 v172, 0xbf29c268, v158 :: v_dual_add_f32 v175, v100, v175
	s_delay_alu instid0(VALU_DEP_4)
	v_dual_add_f32 v174, v101, v174 :: v_dual_fmamk_f32 v177, v158, 0x3e750f2a, v157
	v_fmac_f32_e32 v157, 0xbe750f2a, v158
	v_mul_f32_e32 v179, 0xbf52af12, v176
	v_dual_mul_f32 v155, 0x3f116cb1, v93 :: v_dual_add_f32 v178, v98, v92
	v_sub_f32_e32 v92, v92, v98
	v_dual_add_f32 v99, v100, v99 :: v_dual_add_f32 v172, v101, v172
	v_add_f32_e32 v159, v100, v159
	v_dual_add_f32 v168, v100, v168 :: v_dual_add_f32 v169, v101, v169
	v_add_f32_e32 v156, v101, v177
	v_dual_add_f32 v100, v101, v157 :: v_dual_fmamk_f32 v101, v92, 0x3f52af12, v155
	v_fmac_f32_e32 v155, 0xbf52af12, v92
	v_fmamk_f32 v98, v178, 0x3f116cb1, v179
	v_mul_f32_e32 v157, 0xbf6f5d39, v176
	v_fma_f32 v158, 0x3f116cb1, v178, -v179
	s_delay_alu instid0(VALU_DEP_4) | instskip(NEXT) | instid1(VALU_DEP_4)
	v_dual_add_f32 v101, v101, v165 :: v_dual_add_f32 v154, v155, v154
	v_add_f32_e32 v98, v98, v164
	s_delay_alu instid0(VALU_DEP_4) | instskip(NEXT) | instid1(VALU_DEP_4)
	v_dual_mul_f32 v164, 0xbeb58ec6, v93 :: v_dual_fmamk_f32 v165, v178, 0xbeb58ec6, v157
	v_dual_add_f32 v153, v158, v153 :: v_dual_mul_f32 v158, 0xbe750f2a, v176
	v_fma_f32 v157, 0xbeb58ec6, v178, -v157
	s_delay_alu instid0(VALU_DEP_3) | instskip(NEXT) | instid1(VALU_DEP_4)
	v_fmamk_f32 v155, v92, 0x3f6f5d39, v164
	v_dual_add_f32 v165, v165, v166 :: v_dual_fmac_f32 v164, 0xbf6f5d39, v92
	s_delay_alu instid0(VALU_DEP_3) | instskip(NEXT) | instid1(VALU_DEP_3)
	v_dual_fmamk_f32 v166, v178, 0xbf788fa5, v158 :: v_dual_add_f32 v157, v157, v159
	v_add_f32_e32 v155, v155, v167
	v_mul_f32_e32 v167, 0xbf788fa5, v93
	s_delay_alu instid0(VALU_DEP_4) | instskip(SKIP_2) | instid1(VALU_DEP_4)
	v_add_f32_e32 v159, v164, v160
	v_mul_f32_e32 v160, 0x3f29c268, v176
	v_dual_add_f32 v164, v166, v168 :: v_dual_mul_f32 v177, 0xbf3f9e67, v93
	v_fmamk_f32 v166, v92, 0x3e750f2a, v167
	v_fma_f32 v158, 0xbf788fa5, v178, -v158
	v_fmac_f32_e32 v167, 0xbe750f2a, v92
	v_fmamk_f32 v168, v178, 0xbf3f9e67, v160
	v_fma_f32 v160, 0xbf3f9e67, v178, -v160
	s_delay_alu instid0(VALU_DEP_3) | instskip(NEXT) | instid1(VALU_DEP_3)
	v_dual_add_f32 v158, v158, v161 :: v_dual_add_f32 v161, v167, v162
	v_add_f32_e32 v139, v168, v139
	v_dual_mul_f32 v167, 0x3f7e222b, v176 :: v_dual_add_f32 v166, v166, v169
	v_mul_f32_e32 v168, 0x3df6dbef, v93
	s_delay_alu instid0(VALU_DEP_2) | instskip(SKIP_2) | instid1(VALU_DEP_4)
	v_dual_add_f32 v160, v160, v163 :: v_dual_fmamk_f32 v169, v178, 0x3df6dbef, v167
	v_fmamk_f32 v162, v92, 0xbf29c268, v177
	v_fmac_f32_e32 v177, 0x3f29c268, v92
	v_fmamk_f32 v163, v92, 0xbf7e222b, v168
	s_delay_alu instid0(VALU_DEP_3) | instskip(NEXT) | instid1(VALU_DEP_3)
	v_dual_add_f32 v169, v169, v173 :: v_dual_add_f32 v162, v162, v170
	v_add_f32_e32 v140, v177, v140
	s_delay_alu instid0(VALU_DEP_3) | instskip(SKIP_2) | instid1(VALU_DEP_2)
	v_dual_mul_f32 v170, 0x3eedf032, v176 :: v_dual_add_f32 v163, v163, v174
	v_fma_f32 v167, 0x3df6dbef, v178, -v167
	v_fmac_f32_e32 v168, 0x3f7e222b, v92
	v_dual_add_f32 v174, v96, v94 :: v_dual_add_f32 v167, v167, v171
	s_delay_alu instid0(VALU_DEP_2) | instskip(SKIP_1) | instid1(VALU_DEP_2)
	v_dual_fmamk_f32 v173, v178, 0x3f62ad3f, v170 :: v_dual_add_f32 v168, v168, v172
	v_mul_f32_e32 v93, 0x3f62ad3f, v93
	v_dual_sub_f32 v171, v95, v97 :: v_dual_add_f32 v172, v173, v175
	s_delay_alu instid0(VALU_DEP_2) | instskip(SKIP_1) | instid1(VALU_DEP_3)
	v_fmamk_f32 v173, v92, 0xbeedf032, v93
	v_fmac_f32_e32 v93, 0x3eedf032, v92
	v_dual_sub_f32 v92, v94, v96 :: v_dual_mul_f32 v175, 0xbf7e222b, v171
	s_delay_alu instid0(VALU_DEP_3) | instskip(SKIP_2) | instid1(VALU_DEP_4)
	v_add_f32_e32 v156, v173, v156
	v_add_f32_e32 v95, v97, v95
	v_fma_f32 v97, 0x3f62ad3f, v178, -v170
	v_fmamk_f32 v94, v174, 0x3df6dbef, v175
	s_delay_alu instid0(VALU_DEP_1) | instskip(NEXT) | instid1(VALU_DEP_4)
	v_add_f32_e32 v94, v94, v98
	v_dual_mul_f32 v96, 0x3df6dbef, v95 :: v_dual_add_f32 v93, v93, v100
	s_delay_alu instid0(VALU_DEP_4) | instskip(SKIP_1) | instid1(VALU_DEP_3)
	v_add_f32_e32 v97, v97, v99
	v_fma_f32 v100, 0x3df6dbef, v174, -v175
	v_fmamk_f32 v98, v92, 0x3f7e222b, v96
	v_mul_f32_e32 v99, 0xbe750f2a, v171
	v_mul_f32_e32 v170, 0xbf788fa5, v95
	s_delay_alu instid0(VALU_DEP_4) | instskip(NEXT) | instid1(VALU_DEP_4)
	v_add_f32_e32 v100, v100, v153
	v_add_f32_e32 v98, v98, v101
	s_delay_alu instid0(VALU_DEP_4) | instskip(SKIP_3) | instid1(VALU_DEP_3)
	v_fmamk_f32 v101, v174, 0xbf788fa5, v99
	v_fmac_f32_e32 v96, 0xbf7e222b, v92
	v_fmamk_f32 v153, v92, 0x3e750f2a, v170
	v_fma_f32 v99, 0xbf788fa5, v174, -v99
	v_dual_add_f32 v101, v101, v165 :: v_dual_add_f32 v96, v96, v154
	s_delay_alu instid0(VALU_DEP_2) | instskip(NEXT) | instid1(VALU_DEP_4)
	v_dual_mul_f32 v154, 0x3f6f5d39, v171 :: v_dual_add_f32 v99, v99, v157
	v_add_f32_e32 v153, v153, v155
	v_mul_f32_e32 v165, 0xbeb58ec6, v95
	s_delay_alu instid0(VALU_DEP_3) | instskip(SKIP_1) | instid1(VALU_DEP_2)
	v_fmamk_f32 v155, v174, 0xbeb58ec6, v154
	v_fma_f32 v154, 0xbeb58ec6, v174, -v154
	v_dual_add_f32 v155, v155, v164 :: v_dual_fmamk_f32 v164, v92, 0xbf6f5d39, v165
	s_delay_alu instid0(VALU_DEP_2) | instskip(NEXT) | instid1(VALU_DEP_2)
	v_add_f32_e32 v154, v154, v158
	v_dual_add_f32 v164, v164, v166 :: v_dual_fmac_f32 v165, 0x3f6f5d39, v92
	v_mul_f32_e32 v173, 0x3f62ad3f, v95
	v_mul_f32_e32 v166, 0x3f116cb1, v95
	s_delay_alu instid0(VALU_DEP_2) | instskip(SKIP_3) | instid1(VALU_DEP_4)
	v_dual_add_f32 v158, v165, v161 :: v_dual_fmamk_f32 v161, v92, 0xbeedf032, v173
	v_fmac_f32_e32 v170, 0xbe750f2a, v92
	v_mul_f32_e32 v165, 0xbf52af12, v171
	v_fmac_f32_e32 v173, 0x3eedf032, v92
	v_add_f32_e32 v161, v161, v162
	s_delay_alu instid0(VALU_DEP_4) | instskip(NEXT) | instid1(VALU_DEP_3)
	v_add_f32_e32 v157, v170, v159
	v_dual_mul_f32 v159, 0x3eedf032, v171 :: v_dual_add_f32 v140, v173, v140
	v_fmamk_f32 v162, v174, 0x3f116cb1, v165
	s_delay_alu instid0(VALU_DEP_2) | instskip(SKIP_1) | instid1(VALU_DEP_3)
	v_fmamk_f32 v170, v174, 0x3f62ad3f, v159
	v_fma_f32 v159, 0x3f62ad3f, v174, -v159
	v_add_f32_e32 v162, v162, v169
	v_dual_add_f32 v169, v90, v84 :: v_dual_sub_f32 v84, v84, v90
	v_fma_f32 v165, 0x3f116cb1, v174, -v165
	s_delay_alu instid0(VALU_DEP_4) | instskip(SKIP_2) | instid1(VALU_DEP_4)
	v_add_f32_e32 v159, v159, v160
	v_add_f32_e32 v139, v170, v139
	v_mul_f32_e32 v170, 0xbf29c268, v171
	v_dual_fmamk_f32 v160, v92, 0x3f52af12, v166 :: v_dual_add_f32 v165, v165, v167
	v_sub_f32_e32 v167, v85, v91
	s_delay_alu instid0(VALU_DEP_2) | instskip(NEXT) | instid1(VALU_DEP_2)
	v_dual_add_f32 v160, v160, v163 :: v_dual_fmamk_f32 v163, v174, 0xbf3f9e67, v170
	v_mul_f32_e32 v171, 0xbf6f5d39, v167
	v_add_f32_e32 v85, v91, v85
	v_fma_f32 v91, 0xbf3f9e67, v174, -v170
	s_delay_alu instid0(VALU_DEP_3) | instskip(SKIP_3) | instid1(VALU_DEP_4)
	v_dual_add_f32 v163, v163, v172 :: v_dual_fmamk_f32 v90, v169, 0xbeb58ec6, v171
	v_fmac_f32_e32 v166, 0xbf52af12, v92
	v_mul_f32_e32 v95, 0xbf3f9e67, v95
	v_mul_f32_e32 v170, 0x3df6dbef, v85
	v_add_f32_e32 v90, v90, v94
	s_delay_alu instid0(VALU_DEP_4) | instskip(NEXT) | instid1(VALU_DEP_4)
	v_add_f32_e32 v166, v166, v168
	v_fmamk_f32 v168, v92, 0x3f29c268, v95
	v_fmac_f32_e32 v95, 0xbf29c268, v92
	v_mul_f32_e32 v92, 0xbeb58ec6, v85
	s_delay_alu instid0(VALU_DEP_3) | instskip(NEXT) | instid1(VALU_DEP_2)
	v_dual_add_f32 v91, v91, v97 :: v_dual_add_f32 v156, v168, v156
	v_fmamk_f32 v94, v84, 0x3f6f5d39, v92
	v_fmac_f32_e32 v92, 0xbf6f5d39, v84
	v_fma_f32 v97, 0xbeb58ec6, v169, -v171
	s_delay_alu instid0(VALU_DEP_3) | instskip(NEXT) | instid1(VALU_DEP_3)
	v_dual_add_f32 v94, v94, v98 :: v_dual_add_f32 v93, v95, v93
	v_dual_mul_f32 v95, 0x3f29c268, v167 :: v_dual_add_f32 v92, v92, v96
	s_delay_alu instid0(VALU_DEP_3) | instskip(NEXT) | instid1(VALU_DEP_2)
	v_dual_add_f32 v97, v97, v100 :: v_dual_mul_f32 v100, 0x3eedf032, v167
	v_fmamk_f32 v98, v169, 0xbf3f9e67, v95
	v_fma_f32 v95, 0xbf3f9e67, v169, -v95
	v_mul_f32_e32 v168, 0xbf3f9e67, v85
	s_delay_alu instid0(VALU_DEP_3) | instskip(NEXT) | instid1(VALU_DEP_2)
	v_dual_add_f32 v98, v98, v101 :: v_dual_fmamk_f32 v101, v169, 0x3f62ad3f, v100
	v_dual_add_f32 v95, v95, v99 :: v_dual_fmamk_f32 v96, v84, 0xbf29c268, v168
	s_delay_alu instid0(VALU_DEP_1) | instskip(SKIP_1) | instid1(VALU_DEP_1)
	v_dual_add_f32 v101, v101, v155 :: v_dual_add_f32 v96, v96, v153
	v_mul_f32_e32 v153, 0x3f62ad3f, v85
	v_fmamk_f32 v155, v84, 0xbeedf032, v153
	v_fmac_f32_e32 v153, 0x3eedf032, v84
	s_delay_alu instid0(VALU_DEP_1) | instskip(NEXT) | instid1(VALU_DEP_1)
	v_dual_fmac_f32 v168, 0x3f29c268, v84 :: v_dual_add_f32 v153, v153, v158
	v_add_f32_e32 v99, v168, v157
	v_fma_f32 v100, 0x3f62ad3f, v169, -v100
	v_mul_f32_e32 v157, 0xbf7e222b, v167
	v_mul_f32_e32 v158, 0x3e750f2a, v167
	s_delay_alu instid0(VALU_DEP_3) | instskip(SKIP_1) | instid1(VALU_DEP_1)
	v_dual_mul_f32 v167, 0x3f52af12, v167 :: v_dual_add_f32 v100, v100, v154
	v_fmamk_f32 v154, v84, 0x3f7e222b, v170
	v_add_f32_e32 v154, v154, v161
	v_dual_fmamk_f32 v168, v169, 0x3df6dbef, v157 :: v_dual_add_f32 v155, v155, v164
	v_dual_mul_f32 v164, 0xbf788fa5, v85 :: v_dual_fmamk_f32 v161, v169, 0xbf788fa5, v158
	v_fma_f32 v157, 0x3df6dbef, v169, -v157
	s_delay_alu instid0(VALU_DEP_3) | instskip(NEXT) | instid1(VALU_DEP_3)
	v_dual_add_f32 v139, v168, v139 :: v_dual_fmac_f32 v170, 0xbf7e222b, v84
	v_add_f32_e32 v161, v161, v162
	v_fma_f32 v158, 0xbf788fa5, v169, -v158
	s_delay_alu instid0(VALU_DEP_4) | instskip(SKIP_2) | instid1(VALU_DEP_4)
	v_dual_add_f32 v157, v157, v159 :: v_dual_sub_f32 v162, v87, v89
	v_add_f32_e32 v87, v89, v87
	v_fma_f32 v89, 0x3f116cb1, v169, -v167
	v_dual_add_f32 v158, v158, v165 :: v_dual_add_f32 v165, v88, v86
	v_dual_fmamk_f32 v159, v84, 0xbe750f2a, v164 :: v_dual_add_f32 v140, v170, v140
	v_fmac_f32_e32 v164, 0x3e750f2a, v84
	v_mul_f32_e32 v85, 0x3f116cb1, v85
	v_add_f32_e32 v89, v89, v91
	s_delay_alu instid0(VALU_DEP_4) | instskip(NEXT) | instid1(VALU_DEP_4)
	v_dual_add_f32 v159, v159, v160 :: v_dual_fmamk_f32 v160, v169, 0x3f116cb1, v167
	v_add_f32_e32 v164, v164, v166
	v_mul_f32_e32 v166, 0xbf29c268, v162
	s_delay_alu instid0(VALU_DEP_3)
	v_dual_mul_f32 v91, 0x3f7e222b, v162 :: v_dual_add_f32 v160, v160, v163
	v_fmamk_f32 v163, v84, 0xbf52af12, v85
	v_fmac_f32_e32 v85, 0x3f52af12, v84
	v_sub_f32_e32 v84, v86, v88
	v_fmamk_f32 v86, v165, 0xbf3f9e67, v166
	v_mul_f32_e32 v88, 0xbf3f9e67, v87
	s_delay_alu instid0(VALU_DEP_4) | instskip(SKIP_1) | instid1(VALU_DEP_4)
	v_dual_add_f32 v156, v163, v156 :: v_dual_add_f32 v85, v85, v93
	v_fma_f32 v93, 0xbf3f9e67, v165, -v166
	v_dual_add_f32 v86, v86, v90 :: v_dual_mul_f32 v163, 0x3df6dbef, v87
	s_delay_alu instid0(VALU_DEP_4) | instskip(NEXT) | instid1(VALU_DEP_3)
	v_fmamk_f32 v90, v84, 0x3f29c268, v88
	v_dual_fmac_f32 v88, 0xbf29c268, v84 :: v_dual_add_f32 v93, v93, v97
	v_mul_f32_e32 v97, 0xbf52af12, v162
	v_mul_f32_e32 v166, 0xbf788fa5, v87
	s_delay_alu instid0(VALU_DEP_4)
	v_add_f32_e32 v90, v90, v94
	v_fmamk_f32 v94, v165, 0x3df6dbef, v91
	v_add_f32_e32 v88, v88, v92
	v_fmamk_f32 v92, v84, 0xbf7e222b, v163
	v_fma_f32 v91, 0x3df6dbef, v165, -v91
	v_fmac_f32_e32 v163, 0x3f7e222b, v84
	s_delay_alu instid0(VALU_DEP_2) | instskip(NEXT) | instid1(VALU_DEP_2)
	v_dual_add_f32 v92, v92, v96 :: v_dual_add_f32 v91, v91, v95
	v_add_f32_e32 v95, v163, v99
	v_mul_f32_e32 v99, 0x3e750f2a, v162
	s_delay_alu instid0(VALU_DEP_1) | instskip(SKIP_3) | instid1(VALU_DEP_3)
	v_fmamk_f32 v163, v165, 0xbf788fa5, v99
	v_fma_f32 v99, 0xbf788fa5, v165, -v99
	v_fmamk_f32 v96, v165, 0x3f116cb1, v97
	v_fma_f32 v97, 0x3f116cb1, v165, -v97
	v_add_f32_e32 v99, v99, v157
	s_delay_alu instid0(VALU_DEP_2) | instskip(SKIP_1) | instid1(VALU_DEP_1)
	v_dual_add_f32 v96, v96, v101 :: v_dual_add_f32 v97, v97, v100
	v_dual_add_f32 v100, v163, v139 :: v_dual_fmamk_f32 v139, v84, 0xbe750f2a, v166
	v_add_f32_e32 v139, v139, v154
	v_add_f32_e32 v94, v94, v98
	v_mul_f32_e32 v98, 0x3f116cb1, v87
	s_delay_alu instid0(VALU_DEP_1) | instskip(NEXT) | instid1(VALU_DEP_1)
	v_fmamk_f32 v101, v84, 0x3f52af12, v98
	v_add_f32_e32 v101, v101, v155
	v_mul_f32_e32 v155, 0x3f62ad3f, v87
	v_mul_f32_e32 v87, 0xbeb58ec6, v87
	s_delay_alu instid0(VALU_DEP_2) | instskip(NEXT) | instid1(VALU_DEP_1)
	v_fmamk_f32 v157, v84, 0xbeedf032, v155
	v_dual_fmac_f32 v98, 0xbf52af12, v84 :: v_dual_add_f32 v157, v157, v159
	s_delay_alu instid0(VALU_DEP_1) | instskip(NEXT) | instid1(VALU_DEP_1)
	v_dual_add_f32 v98, v98, v153 :: v_dual_mul_f32 v153, 0x3eedf032, v162
	v_fmamk_f32 v154, v165, 0x3f62ad3f, v153
	v_fma_f32 v153, 0x3f62ad3f, v165, -v153
	v_fmac_f32_e32 v155, 0x3eedf032, v84
	v_mul_f32_e32 v162, 0xbf6f5d39, v162
	s_delay_alu instid0(VALU_DEP_3) | instskip(NEXT) | instid1(VALU_DEP_3)
	v_dual_add_f32 v154, v154, v161 :: v_dual_add_f32 v153, v153, v158
	v_add_f32_e32 v155, v155, v164
	s_delay_alu instid0(VALU_DEP_3) | instskip(SKIP_2) | instid1(VALU_DEP_3)
	v_dual_fmamk_f32 v159, v165, 0xbeb58ec6, v162 :: v_dual_add_f32 v164, v83, v81
	v_dual_sub_f32 v158, v81, v83 :: v_dual_add_f32 v161, v82, v80
	v_fma_f32 v81, 0xbeb58ec6, v165, -v162
	v_dual_add_f32 v159, v159, v160 :: v_dual_sub_f32 v162, v80, v82
	v_fmamk_f32 v160, v84, 0x3f6f5d39, v87
	s_delay_alu instid0(VALU_DEP_4) | instskip(SKIP_2) | instid1(VALU_DEP_4)
	v_mul_f32_e32 v163, 0xbe750f2a, v158
	v_fmac_f32_e32 v87, 0xbf6f5d39, v84
	v_mul_f32_e32 v83, 0xbf788fa5, v164
	v_add_f32_e32 v156, v160, v156
	v_add_f32_e32 v160, v81, v89
	v_fmamk_f32 v80, v161, 0xbf788fa5, v163
	v_fma_f32 v82, 0xbf788fa5, v161, -v163
	v_dual_fmac_f32 v166, 0x3e750f2a, v84 :: v_dual_add_f32 v165, v87, v85
	s_delay_alu instid0(VALU_DEP_3) | instskip(NEXT) | instid1(VALU_DEP_3)
	v_dual_fmamk_f32 v81, v162, 0x3e750f2a, v83 :: v_dual_add_f32 v80, v80, v86
	v_dual_mul_f32 v85, 0x3eedf032, v158 :: v_dual_add_f32 v82, v82, v93
	v_mul_f32_e32 v87, 0x3f62ad3f, v164
	v_fmac_f32_e32 v83, 0xbe750f2a, v162
	v_mul_f32_e32 v89, 0xbf29c268, v158
	s_delay_alu instid0(VALU_DEP_4) | instskip(NEXT) | instid1(VALU_DEP_4)
	v_fmamk_f32 v84, v161, 0x3f62ad3f, v85
	v_dual_add_f32 v81, v81, v90 :: v_dual_fmamk_f32 v86, v162, 0xbeedf032, v87
	s_delay_alu instid0(VALU_DEP_4) | instskip(SKIP_1) | instid1(VALU_DEP_4)
	v_add_f32_e32 v83, v83, v88
	v_fma_f32 v88, 0x3f62ad3f, v161, -v85
	v_add_f32_e32 v84, v84, v94
	s_delay_alu instid0(VALU_DEP_4) | instskip(NEXT) | instid1(VALU_DEP_3)
	v_dual_fmamk_f32 v90, v161, 0xbf3f9e67, v89 :: v_dual_add_f32 v85, v86, v92
	v_dual_mul_f32 v93, 0x3f52af12, v158 :: v_dual_add_f32 v86, v88, v91
	v_add_f32_e32 v140, v166, v140
	s_delay_alu instid0(VALU_DEP_3)
	v_add_f32_e32 v88, v90, v96
	v_fma_f32 v91, 0xbf3f9e67, v161, -v89
	v_fmac_f32_e32 v87, 0x3eedf032, v162
	v_mul_f32_e32 v92, 0xbf3f9e67, v164
	v_fmamk_f32 v94, v161, 0x3f116cb1, v93
	v_mul_f32_e32 v96, 0xbf6f5d39, v158
	s_delay_alu instid0(VALU_DEP_3) | instskip(NEXT) | instid1(VALU_DEP_1)
	v_fmamk_f32 v90, v162, 0x3f29c268, v92
	v_add_f32_e32 v89, v90, v101
	v_add_f32_e32 v90, v91, v97
	v_dual_add_f32 v87, v87, v95 :: v_dual_fmac_f32 v92, 0xbf29c268, v162
	v_mul_f32_e32 v95, 0x3f116cb1, v164
	v_mul_f32_e32 v101, 0x3f7e222b, v158
	s_delay_alu instid0(VALU_DEP_3) | instskip(NEXT) | instid1(VALU_DEP_3)
	v_dual_add_f32 v91, v92, v98 :: v_dual_add_f32 v92, v94, v100
	v_fmamk_f32 v94, v162, 0xbf52af12, v95
	v_fma_f32 v97, 0x3f116cb1, v161, -v93
	v_fmac_f32_e32 v95, 0x3f52af12, v162
	v_mul_f32_e32 v100, 0xbeb58ec6, v164
	s_delay_alu instid0(VALU_DEP_2)
	v_add_f32_e32 v95, v95, v140
	v_add_f32_e32 v93, v94, v139
	;; [unrolled: 1-line block ×3, first 2 shown]
	v_fma_f32 v99, 0xbeb58ec6, v161, -v96
	v_fmamk_f32 v97, v162, 0x3f6f5d39, v100
	v_dual_mul_f32 v140, 0x3df6dbef, v164 :: v_dual_fmamk_f32 v139, v161, 0x3df6dbef, v101
	s_delay_alu instid0(VALU_DEP_2) | instskip(SKIP_1) | instid1(VALU_DEP_1)
	v_dual_add_f32 v97, v97, v157 :: v_dual_fmac_f32 v100, 0xbf6f5d39, v162
	v_fmamk_f32 v98, v161, 0xbeb58ec6, v96
	v_add_f32_e32 v96, v98, v154
	s_delay_alu instid0(VALU_DEP_4) | instskip(NEXT) | instid1(VALU_DEP_4)
	v_dual_add_f32 v98, v99, v153 :: v_dual_fmamk_f32 v153, v162, 0xbf7e222b, v140
	v_add_f32_e32 v99, v100, v155
	v_add_f32_e32 v100, v139, v159
	v_fma_f32 v154, 0x3df6dbef, v161, -v101
	s_delay_alu instid0(VALU_DEP_1) | instskip(NEXT) | instid1(VALU_DEP_1)
	v_dual_fmac_f32 v140, 0x3f7e222b, v162 :: v_dual_add_f32 v139, v154, v160
	v_dual_add_f32 v140, v140, v165 :: v_dual_add_f32 v101, v153, v156
	ds_store_2addr_b64 v151, v[102:103], v[80:81] offset1:1
	ds_store_2addr_b64 v151, v[84:85], v[88:89] offset0:2 offset1:3
	ds_store_2addr_b64 v151, v[92:93], v[96:97] offset0:4 offset1:5
	;; [unrolled: 1-line block ×5, first 2 shown]
	ds_store_b64 v151, v[82:83] offset:96
	s_and_saveexec_b32 s0, vcc_lo
	s_cbranch_execz .LBB0_13
; %bb.12:
	v_dual_add_f32 v100, v3, v65 :: v_dual_add_f32 v101, v1, v67
	v_dual_sub_f32 v90, v64, v2 :: v_dual_sub_f32 v87, v66, v0
	s_delay_alu instid0(VALU_DEP_2) | instskip(NEXT) | instid1(VALU_DEP_3)
	v_dual_add_f32 v102, v71, v77 :: v_dual_mul_f32 v103, 0xbf788fa5, v100
	v_dual_mul_f32 v140, 0x3f62ad3f, v101 :: v_dual_add_f32 v91, v2, v64
	v_dual_sub_f32 v88, v76, v70 :: v_dual_add_f32 v139, v134, v79
	s_delay_alu instid0(VALU_DEP_3) | instskip(NEXT) | instid1(VALU_DEP_4)
	v_dual_fmamk_f32 v80, v90, 0x3e750f2a, v103 :: v_dual_add_f32 v151, v136, v73
	v_mul_f32_e32 v153, 0xbf3f9e67, v102
	s_delay_alu instid0(VALU_DEP_4) | instskip(NEXT) | instid1(VALU_DEP_3)
	v_dual_fmamk_f32 v81, v87, 0xbeedf032, v140 :: v_dual_sub_f32 v154, v65, v3
	v_add_f32_e32 v80, v138, v80
	v_dual_sub_f32 v86, v78, v133 :: v_dual_sub_f32 v89, v72, v135
	v_mul_f32_e32 v155, 0x3f116cb1, v139
	v_dual_fmamk_f32 v82, v88, 0x3f29c268, v153 :: v_dual_sub_f32 v157, v67, v1
	s_delay_alu instid0(VALU_DEP_4) | instskip(SKIP_1) | instid1(VALU_DEP_4)
	v_add_f32_e32 v80, v81, v80
	v_dual_mul_f32 v156, 0xbe750f2a, v154 :: v_dual_sub_f32 v159, v77, v71
	v_dual_add_f32 v92, v0, v66 :: v_dual_fmamk_f32 v81, v86, 0xbf52af12, v155
	s_delay_alu instid0(VALU_DEP_3) | instskip(NEXT) | instid1(VALU_DEP_3)
	v_add_f32_e32 v80, v82, v80
	v_dual_fmamk_f32 v82, v91, 0xbf788fa5, v156 :: v_dual_add_f32 v93, v70, v76
	v_dual_mul_f32 v158, 0x3eedf032, v157 :: v_dual_add_f32 v163, v69, v75
	s_delay_alu instid0(VALU_DEP_3) | instskip(NEXT) | instid1(VALU_DEP_2)
	v_dual_add_f32 v80, v81, v80 :: v_dual_mul_f32 v161, 0xbf29c268, v159
	v_dual_add_f32 v81, v137, v82 :: v_dual_fmamk_f32 v82, v92, 0x3f62ad3f, v158
	v_dual_add_f32 v95, v133, v78 :: v_dual_mul_f32 v160, 0xbeb58ec6, v151
	s_delay_alu instid0(VALU_DEP_4) | instskip(NEXT) | instid1(VALU_DEP_3)
	v_dual_sub_f32 v162, v79, v134 :: v_dual_mul_f32 v165, 0x3df6dbef, v163
	v_dual_sub_f32 v166, v73, v136 :: v_dual_add_f32 v81, v82, v81
	s_delay_alu instid0(VALU_DEP_3) | instskip(SKIP_1) | instid1(VALU_DEP_3)
	v_dual_fmamk_f32 v83, v89, 0x3f6f5d39, v160 :: v_dual_sub_f32 v94, v74, v68
	v_dual_mul_f32 v168, 0xbf3f9e67, v100 :: v_dual_add_f32 v97, v68, v74
	v_dual_mul_f32 v167, 0xbf6f5d39, v166 :: v_dual_add_f32 v96, v135, v72
	s_delay_alu instid0(VALU_DEP_2) | instskip(NEXT) | instid1(VALU_DEP_4)
	v_dual_add_f32 v80, v83, v80 :: v_dual_fmamk_f32 v85, v90, 0x3f29c268, v168
	v_fmamk_f32 v83, v94, 0xbf7e222b, v165
	v_fmamk_f32 v82, v93, 0xbf3f9e67, v161
	v_mul_f32_e32 v164, 0x3f52af12, v162
	v_dual_sub_f32 v170, v75, v69 :: v_dual_mul_f32 v173, 0xbf29c268, v154
	s_delay_alu instid0(VALU_DEP_3) | instskip(NEXT) | instid1(VALU_DEP_3)
	v_dual_fmamk_f32 v84, v96, 0xbeb58ec6, v167 :: v_dual_add_f32 v81, v82, v81
	v_dual_fmamk_f32 v82, v95, 0x3f116cb1, v164 :: v_dual_mul_f32 v171, 0x3f116cb1, v102
	v_mul_f32_e32 v169, 0x3df6dbef, v101
	s_delay_alu instid0(VALU_DEP_4) | instskip(NEXT) | instid1(VALU_DEP_3)
	v_dual_mul_f32 v172, 0x3f7e222b, v170 :: v_dual_mul_f32 v175, 0x3f7e222b, v157
	v_add_f32_e32 v82, v82, v81
	v_dual_mul_f32 v188, 0xbf788fa5, v151 :: v_dual_mul_f32 v195, 0xbf788fa5, v101
	v_add_f32_e32 v81, v83, v80
	s_delay_alu instid0(VALU_DEP_3) | instskip(NEXT) | instid1(VALU_DEP_3)
	v_dual_fmamk_f32 v83, v87, 0xbf7e222b, v169 :: v_dual_add_f32 v80, v84, v82
	v_dual_add_f32 v82, v138, v85 :: v_dual_fmamk_f32 v191, v89, 0xbe750f2a, v188
	v_fmamk_f32 v84, v97, 0x3df6dbef, v172
	v_fmamk_f32 v85, v91, 0xbf3f9e67, v173
	;; [unrolled: 1-line block ×3, first 2 shown]
	v_mul_f32_e32 v177, 0xbf52af12, v159
	s_delay_alu instid0(VALU_DEP_4) | instskip(NEXT) | instid1(VALU_DEP_4)
	v_dual_mul_f32 v181, 0x3eedf032, v166 :: v_dual_add_f32 v80, v84, v80
	v_dual_add_f32 v85, v137, v85 :: v_dual_mul_f32 v176, 0x3f62ad3f, v151
	v_mul_f32_e32 v178, 0x3e750f2a, v162
	s_delay_alu instid0(VALU_DEP_3) | instskip(SKIP_1) | instid1(VALU_DEP_4)
	v_fmamk_f32 v99, v96, 0x3f62ad3f, v181
	v_mul_f32_e32 v187, 0x3f29c268, v157
	v_dual_add_f32 v84, v98, v85 :: v_dual_fmamk_f32 v85, v93, 0x3f116cb1, v177
	v_mul_f32_e32 v174, 0xbf788fa5, v139
	v_dual_add_f32 v82, v83, v82 :: v_dual_fmamk_f32 v83, v88, 0x3f52af12, v171
	v_mul_f32_e32 v179, 0xbeb58ec6, v163
	v_dual_mul_f32 v182, 0xbf3f9e67, v101 :: v_dual_fmamk_f32 v189, v92, 0xbf3f9e67, v187
	v_mul_f32_e32 v185, 0xbf6f5d39, v154
	s_delay_alu instid0(VALU_DEP_4)
	v_dual_add_f32 v82, v83, v82 :: v_dual_fmamk_f32 v83, v86, 0xbe750f2a, v174
	v_mul_f32_e32 v180, 0xbeb58ec6, v100
	v_mul_f32_e32 v216, 0x3df6dbef, v151
	;; [unrolled: 1-line block ×3, first 2 shown]
	v_dual_mul_f32 v196, 0xbeb58ec6, v102 :: v_dual_mul_f32 v209, 0xbeb58ec6, v101
	v_dual_add_f32 v82, v83, v82 :: v_dual_fmamk_f32 v83, v89, 0xbeedf032, v176
	v_mul_f32_e32 v184, 0xbf6f5d39, v170
	v_mul_f32_e32 v211, 0xbf52af12, v154
	v_fmamk_f32 v219, v89, 0xbf7e222b, v216
	v_fmamk_f32 v200, v91, 0x3df6dbef, v198
	v_dual_add_f32 v82, v83, v82 :: v_dual_add_f32 v83, v85, v84
	v_fmamk_f32 v84, v95, 0xbf788fa5, v178
	s_delay_alu instid0(VALU_DEP_3) | instskip(SKIP_2) | instid1(VALU_DEP_4)
	v_dual_mul_f32 v201, 0xbe750f2a, v157 :: v_dual_add_f32 v200, v137, v200
	v_mul_f32_e32 v192, 0x3df6dbef, v100
	v_mul_f32_e32 v205, 0xbf3f9e67, v163
	v_dual_add_f32 v84, v84, v83 :: v_dual_fmamk_f32 v85, v94, 0x3f6f5d39, v179
	s_delay_alu instid0(VALU_DEP_4) | instskip(SKIP_1) | instid1(VALU_DEP_3)
	v_fmamk_f32 v203, v92, 0xbf788fa5, v201
	v_fmamk_f32 v214, v91, 0x3f116cb1, v211
	v_dual_fmamk_f32 v207, v94, 0x3f29c268, v205 :: v_dual_add_f32 v84, v99, v84
	v_fmamk_f32 v99, v91, 0xbeb58ec6, v185
	v_dual_fmamk_f32 v98, v90, 0x3f6f5d39, v180 :: v_dual_add_f32 v83, v85, v82
	s_delay_alu instid0(VALU_DEP_4) | instskip(SKIP_1) | instid1(VALU_DEP_3)
	v_dual_fmamk_f32 v85, v87, 0xbf29c268, v182 :: v_dual_add_f32 v214, v137, v214
	v_fmamk_f32 v194, v90, 0x3f7e222b, v192
	v_add_f32_e32 v82, v138, v98
	v_fmamk_f32 v98, v97, 0xbeb58ec6, v184
	v_mul_f32_e32 v183, 0x3f62ad3f, v102
	v_mul_f32_e32 v186, 0x3df6dbef, v139
	v_add_f32_e32 v99, v137, v99
	v_add_f32_e32 v82, v85, v82
	v_mul_f32_e32 v190, 0x3eedf032, v159
	v_fmamk_f32 v85, v88, 0xbeedf032, v183
	v_mul_f32_e32 v193, 0x3e750f2a, v166
	v_mul_f32_e32 v215, 0xbf6f5d39, v157
	;; [unrolled: 1-line block ×4, first 2 shown]
	v_dual_add_f32 v82, v85, v82 :: v_dual_fmamk_f32 v85, v86, 0x3f7e222b, v186
	s_delay_alu instid0(VALU_DEP_4) | instskip(NEXT) | instid1(VALU_DEP_4)
	v_fmamk_f32 v217, v92, 0xbeb58ec6, v215
	v_fmamk_f32 v199, v97, 0x3f116cb1, v197
	v_mul_f32_e32 v204, 0x3f6f5d39, v159
	s_delay_alu instid0(VALU_DEP_4) | instskip(SKIP_3) | instid1(VALU_DEP_4)
	v_dual_mul_f32 v206, 0x3f116cb1, v100 :: v_dual_add_f32 v85, v85, v82
	v_add_f32_e32 v82, v98, v84
	v_add_f32_e32 v84, v189, v99
	v_fmamk_f32 v98, v93, 0x3f62ad3f, v190
	v_dual_fmamk_f32 v208, v90, 0x3f52af12, v206 :: v_dual_add_f32 v65, v65, v138
	v_mul_f32_e32 v212, 0xbf3f9e67, v139
	s_delay_alu instid0(VALU_DEP_3) | instskip(SKIP_4) | instid1(VALU_DEP_4)
	v_dual_fmac_f32 v155, 0x3f52af12, v86 :: v_dual_add_f32 v84, v98, v84
	v_mul_f32_e32 v189, 0xbf7e222b, v162
	v_add_f32_e32 v85, v191, v85
	v_dual_add_f32 v65, v67, v65 :: v_dual_mul_f32 v218, 0xbe750f2a, v159
	v_fmac_f32_e32 v153, 0xbf29c268, v88
	v_fmamk_f32 v98, v95, 0x3df6dbef, v189
	v_fmac_f32_e32 v216, 0x3f7e222b, v89
	s_delay_alu instid0(VALU_DEP_4) | instskip(SKIP_1) | instid1(VALU_DEP_4)
	v_add_f32_e32 v65, v77, v65
	v_dual_mul_f32 v77, 0xbf3f9e67, v151 :: v_dual_add_f32 v64, v64, v137
	v_add_f32_e32 v84, v98, v84
	v_fmamk_f32 v98, v96, 0xbf788fa5, v193
	v_mul_f32_e32 v191, 0x3f116cb1, v163
	v_add_f32_e32 v65, v79, v65
	v_dual_fmamk_f32 v79, v89, 0x3f29c268, v77 :: v_dual_add_f32 v64, v66, v64
	s_delay_alu instid0(VALU_DEP_4) | instskip(NEXT) | instid1(VALU_DEP_4)
	v_add_f32_e32 v84, v98, v84
	v_fmamk_f32 v99, v94, 0xbf52af12, v191
	s_delay_alu instid0(VALU_DEP_4) | instskip(NEXT) | instid1(VALU_DEP_4)
	v_dual_add_f32 v65, v73, v65 :: v_dual_mul_f32 v154, 0xbeedf032, v154
	v_add_f32_e32 v64, v76, v64
	s_delay_alu instid0(VALU_DEP_4) | instskip(NEXT) | instid1(VALU_DEP_4)
	v_add_f32_e32 v84, v199, v84
	v_add_f32_e32 v85, v99, v85
	s_delay_alu instid0(VALU_DEP_4)
	v_add_f32_e32 v65, v75, v65
	v_dual_add_f32 v99, v138, v194 :: v_dual_fmamk_f32 v194, v87, 0x3e750f2a, v195
	v_add_f32_e32 v199, v203, v200
	v_mul_f32_e32 v203, 0x3eedf032, v162
	v_fmamk_f32 v200, v93, 0xbeb58ec6, v204
	v_mul_f32_e32 v76, 0xbf52af12, v157
	v_dual_add_f32 v98, v194, v99 :: v_dual_fmamk_f32 v99, v88, 0xbf6f5d39, v196
	v_mul_f32_e32 v194, 0x3f62ad3f, v139
	s_delay_alu instid0(VALU_DEP_3) | instskip(SKIP_1) | instid1(VALU_DEP_3)
	v_dual_mul_f32 v222, 0x3f116cb1, v101 :: v_dual_fmamk_f32 v73, v92, 0x3f116cb1, v76
	v_dual_mul_f32 v139, 0xbeb58ec6, v139 :: v_dual_add_f32 v64, v78, v64
	v_dual_add_f32 v98, v99, v98 :: v_dual_fmamk_f32 v99, v86, 0xbeedf032, v194
	v_dual_mul_f32 v78, 0xbf7e222b, v159 :: v_dual_add_f32 v65, v69, v65
	s_delay_alu instid0(VALU_DEP_3) | instskip(SKIP_1) | instid1(VALU_DEP_4)
	v_add_f32_e32 v64, v72, v64
	v_fmac_f32_e32 v140, 0x3eedf032, v87
	v_dual_add_f32 v98, v99, v98 :: v_dual_fmamk_f32 v99, v89, 0x3f52af12, v202
	s_delay_alu instid0(VALU_DEP_4) | instskip(NEXT) | instid1(VALU_DEP_4)
	v_dual_fmamk_f32 v72, v93, 0x3df6dbef, v78 :: v_dual_add_f32 v65, v136, v65
	v_add_f32_e32 v64, v74, v64
	v_mul_f32_e32 v74, 0xbf788fa5, v163
	s_delay_alu instid0(VALU_DEP_4) | instskip(NEXT) | instid1(VALU_DEP_3)
	v_dual_add_f32 v98, v99, v98 :: v_dual_add_f32 v99, v200, v199
	v_dual_fmamk_f32 v199, v95, 0x3f62ad3f, v203 :: v_dual_add_f32 v64, v68, v64
	v_dual_add_f32 v65, v134, v65 :: v_dual_fmac_f32 v194, 0x3eedf032, v86
	s_delay_alu instid0(VALU_DEP_2) | instskip(NEXT) | instid1(VALU_DEP_4)
	v_dual_fmac_f32 v202, 0xbf52af12, v89 :: v_dual_add_f32 v199, v199, v99
	v_dual_add_f32 v99, v207, v98 :: v_dual_add_f32 v98, v138, v208
	v_fmamk_f32 v207, v87, 0x3f6f5d39, v209
	v_mul_f32_e32 v208, 0xbf788fa5, v102
	v_mul_f32_e32 v102, 0x3df6dbef, v102
	v_add_f32_e32 v64, v135, v64
	v_add_f32_e32 v71, v71, v65
	s_delay_alu instid0(VALU_DEP_4) | instskip(SKIP_1) | instid1(VALU_DEP_4)
	v_dual_add_f32 v98, v207, v98 :: v_dual_fmamk_f32 v207, v88, 0x3e750f2a, v208
	v_fma_f32 v78, 0x3df6dbef, v93, -v78
	v_add_f32_e32 v64, v133, v64
	v_fmac_f32_e32 v168, 0xbf29c268, v90
	v_fmac_f32_e32 v160, 0xbf6f5d39, v89
	v_dual_add_f32 v98, v207, v98 :: v_dual_fmamk_f32 v207, v86, 0xbf29c268, v212
	v_fmac_f32_e32 v174, 0x3e750f2a, v86
	v_fmac_f32_e32 v180, 0xbf6f5d39, v90
	v_fmac_f32_e32 v176, 0x3eedf032, v89
	v_fmac_f32_e32 v165, 0x3f7e222b, v94
	v_add_f32_e32 v207, v207, v98
	v_fmac_f32_e32 v183, 0x3eedf032, v88
	v_fmac_f32_e32 v191, 0x3f52af12, v94
	;; [unrolled: 1-line block ×3, first 2 shown]
	s_delay_alu instid0(VALU_DEP_4)
	v_dual_fmac_f32 v186, 0xbf7e222b, v86 :: v_dual_add_f32 v207, v219, v207
	v_mul_f32_e32 v200, 0xbf52af12, v166
	v_mul_f32_e32 v219, 0x3f62ad3f, v100
	v_fmac_f32_e32 v206, 0xbf52af12, v90
	v_fmac_f32_e32 v196, 0x3f6f5d39, v88
	;; [unrolled: 1-line block ×4, first 2 shown]
	v_fmamk_f32 v221, v90, 0x3eedf032, v219
	v_dual_fmamk_f32 v210, v96, 0x3f116cb1, v200 :: v_dual_add_f32 v133, v138, v206
	v_fmac_f32_e32 v77, 0xbf29c268, v89
	s_delay_alu instid0(VALU_DEP_2) | instskip(NEXT) | instid1(VALU_DEP_3)
	v_dual_add_f32 v199, v210, v199 :: v_dual_mul_f32 v210, 0xbf29c268, v170
	v_add_f32_e32 v133, v209, v133
	s_delay_alu instid0(VALU_DEP_2) | instskip(SKIP_1) | instid1(VALU_DEP_2)
	v_fmamk_f32 v213, v97, 0xbf3f9e67, v210
	v_fmac_f32_e32 v212, 0x3f29c268, v86
	v_add_f32_e32 v98, v213, v199
	v_add_f32_e32 v199, v217, v214
	v_fmamk_f32 v213, v93, 0xbf788fa5, v218
	v_mul_f32_e32 v214, 0x3f29c268, v162
	v_mul_f32_e32 v217, 0x3f62ad3f, v163
	v_fmac_f32_e32 v208, 0xbe750f2a, v88
	v_fmac_f32_e32 v192, 0xbf7e222b, v90
	s_delay_alu instid0(VALU_DEP_4) | instskip(NEXT) | instid1(VALU_DEP_4)
	v_dual_add_f32 v100, v213, v199 :: v_dual_fmamk_f32 v199, v95, 0xbf3f9e67, v214
	v_fmamk_f32 v220, v94, 0xbeedf032, v217
	v_mul_f32_e32 v213, 0x3f7e222b, v166
	v_add_f32_e32 v133, v208, v133
	s_delay_alu instid0(VALU_DEP_4) | instskip(NEXT) | instid1(VALU_DEP_4)
	v_dual_fmac_f32 v217, 0x3eedf032, v94 :: v_dual_add_f32 v100, v199, v100
	v_add_f32_e32 v101, v220, v207
	v_dual_add_f32 v207, v138, v221 :: v_dual_fmamk_f32 v220, v87, 0x3f52af12, v222
	s_delay_alu instid0(VALU_DEP_4) | instskip(NEXT) | instid1(VALU_DEP_2)
	v_add_f32_e32 v133, v212, v133
	v_add_f32_e32 v207, v220, v207
	v_fmamk_f32 v220, v88, 0x3f7e222b, v102
	v_fmamk_f32 v199, v96, 0x3df6dbef, v213
	v_fma_f32 v134, 0xbf3f9e67, v97, -v210
	s_delay_alu instid0(VALU_DEP_2) | instskip(SKIP_3) | instid1(VALU_DEP_2)
	v_dual_add_f32 v67, v220, v207 :: v_dual_add_f32 v100, v199, v100
	v_mul_f32_e32 v199, 0x3eedf032, v170
	v_fmamk_f32 v207, v86, 0x3f6f5d39, v139
	v_fmac_f32_e32 v139, 0xbf6f5d39, v86
	v_dual_fmamk_f32 v221, v97, 0x3f62ad3f, v199 :: v_dual_add_f32 v66, v207, v67
	v_fmamk_f32 v67, v91, 0x3f62ad3f, v154
	s_delay_alu instid0(VALU_DEP_2) | instskip(NEXT) | instid1(VALU_DEP_2)
	v_dual_fmac_f32 v219, 0xbeedf032, v90 :: v_dual_add_f32 v100, v221, v100
	v_dual_add_f32 v66, v79, v66 :: v_dual_add_f32 v67, v137, v67
	v_fma_f32 v79, 0xbf788fa5, v96, -v193
	s_delay_alu instid0(VALU_DEP_2) | instskip(SKIP_1) | instid1(VALU_DEP_2)
	v_add_f32_e32 v67, v73, v67
	v_mul_f32_e32 v73, 0xbf6f5d39, v162
	v_add_f32_e32 v67, v72, v67
	s_delay_alu instid0(VALU_DEP_2) | instskip(SKIP_4) | instid1(VALU_DEP_4)
	v_fmamk_f32 v69, v95, 0xbeb58ec6, v73
	v_mul_f32_e32 v72, 0xbf29c268, v166
	v_fma_f32 v76, 0x3f116cb1, v92, -v76
	v_fma_f32 v73, 0xbeb58ec6, v95, -v73
	v_fmac_f32_e32 v222, 0xbf52af12, v87
	v_dual_add_f32 v67, v69, v67 :: v_dual_fmamk_f32 v68, v96, 0xbf3f9e67, v72
	v_fmamk_f32 v69, v94, 0x3e750f2a, v74
	v_fma_f32 v72, 0xbf3f9e67, v96, -v72
	s_delay_alu instid0(VALU_DEP_3) | instskip(SKIP_1) | instid1(VALU_DEP_4)
	v_dual_fmac_f32 v74, 0xbe750f2a, v94 :: v_dual_add_f32 v67, v68, v67
	v_mul_f32_e32 v75, 0xbe750f2a, v170
	v_dual_add_f32 v65, v69, v66 :: v_dual_add_f32 v66, v70, v64
	v_fma_f32 v69, 0xbf3f9e67, v91, -v173
	v_add_f32_e32 v70, v138, v180
	s_delay_alu instid0(VALU_DEP_4) | instskip(NEXT) | instid1(VALU_DEP_4)
	v_fmamk_f32 v68, v97, 0xbf788fa5, v75
	v_dual_add_f32 v0, v0, v66 :: v_dual_add_f32 v1, v1, v71
	v_fma_f32 v71, 0xbf3f9e67, v92, -v187
	s_delay_alu instid0(VALU_DEP_3) | instskip(SKIP_1) | instid1(VALU_DEP_4)
	v_add_f32_e32 v64, v68, v67
	v_fma_f32 v67, 0xbf788fa5, v91, -v156
	v_dual_add_f32 v0, v2, v0 :: v_dual_fmac_f32 v103, 0xbe750f2a, v90
	v_add_f32_e32 v1, v3, v1
	v_fma_f32 v68, 0x3df6dbef, v97, -v172
	s_delay_alu instid0(VALU_DEP_4) | instskip(SKIP_4) | instid1(VALU_DEP_3)
	v_add_f32_e32 v66, v137, v67
	v_fma_f32 v67, 0x3f62ad3f, v92, -v158
	v_add_f32_e32 v3, v138, v103
	v_fma_f32 v90, 0x3f62ad3f, v91, -v154
	v_fma_f32 v103, 0x3f116cb1, v97, -v197
	v_dual_add_f32 v2, v140, v3 :: v_dual_add_f32 v3, v67, v66
	v_fma_f32 v66, 0xbf3f9e67, v93, -v161
	s_delay_alu instid0(VALU_DEP_2) | instskip(NEXT) | instid1(VALU_DEP_2)
	v_dual_add_f32 v67, v138, v168 :: v_dual_add_f32 v2, v153, v2
	v_add_f32_e32 v3, v66, v3
	v_fma_f32 v66, 0x3f116cb1, v95, -v164
	s_delay_alu instid0(VALU_DEP_1) | instskip(SKIP_1) | instid1(VALU_DEP_1)
	v_add_f32_e32 v3, v66, v3
	v_fma_f32 v66, 0xbeb58ec6, v96, -v167
	v_add_f32_e32 v66, v66, v3
	v_dual_add_f32 v2, v155, v2 :: v_dual_fmac_f32 v169, 0x3f7e222b, v87
	s_delay_alu instid0(VALU_DEP_1) | instskip(NEXT) | instid1(VALU_DEP_2)
	v_dual_fmac_f32 v171, 0xbf52af12, v88 :: v_dual_add_f32 v2, v160, v2
	v_add_f32_e32 v67, v169, v67
	s_delay_alu instid0(VALU_DEP_2) | instskip(NEXT) | instid1(VALU_DEP_2)
	v_add_f32_e32 v3, v165, v2
	v_dual_add_f32 v2, v68, v66 :: v_dual_add_f32 v67, v171, v67
	v_add_f32_e32 v68, v137, v69
	v_fma_f32 v69, 0x3df6dbef, v92, -v175
	s_delay_alu instid0(VALU_DEP_1) | instskip(SKIP_1) | instid1(VALU_DEP_2)
	v_dual_add_f32 v67, v174, v67 :: v_dual_add_f32 v68, v69, v68
	v_fma_f32 v69, 0x3f116cb1, v93, -v177
	v_dual_fmac_f32 v179, 0xbf6f5d39, v94 :: v_dual_add_f32 v66, v176, v67
	s_delay_alu instid0(VALU_DEP_2) | instskip(NEXT) | instid1(VALU_DEP_2)
	v_add_f32_e32 v68, v69, v68
	v_dual_fmac_f32 v182, 0x3f29c268, v87 :: v_dual_add_f32 v67, v179, v66
	v_fma_f32 v66, 0xbeb58ec6, v91, -v185
	v_fma_f32 v69, 0xbf788fa5, v95, -v178
	v_add_f32_e32 v87, v137, v90
	s_delay_alu instid0(VALU_DEP_4)
	v_add_f32_e32 v70, v182, v70
	v_fma_f32 v90, 0xbf788fa5, v93, -v218
	v_add_f32_e32 v66, v137, v66
	v_add_f32_e32 v68, v69, v68
	v_fma_f32 v69, 0x3f62ad3f, v96, -v181
	v_add_f32_e32 v70, v183, v70
	v_add_f32_e32 v76, v76, v87
	;; [unrolled: 1-line block ×3, first 2 shown]
	v_fma_f32 v71, 0x3f62ad3f, v93, -v190
	v_fma_f32 v87, 0xbf3f9e67, v95, -v214
	v_add_f32_e32 v70, v186, v70
	v_add_f32_e32 v76, v78, v76
	s_delay_alu instid0(VALU_DEP_4) | instskip(SKIP_1) | instid1(VALU_DEP_3)
	v_add_f32_e32 v66, v71, v66
	v_fma_f32 v71, 0x3df6dbef, v95, -v189
	v_dual_fmac_f32 v188, 0x3e750f2a, v89 :: v_dual_add_f32 v73, v73, v76
	s_delay_alu instid0(VALU_DEP_2) | instskip(NEXT) | instid1(VALU_DEP_2)
	v_add_f32_e32 v71, v71, v66
	v_add_f32_e32 v70, v188, v70
	;; [unrolled: 1-line block ×3, first 2 shown]
	v_fma_f32 v69, 0xbeb58ec6, v97, -v184
	s_delay_alu instid0(VALU_DEP_1) | instskip(SKIP_3) | instid1(VALU_DEP_2)
	v_dual_add_f32 v66, v69, v68 :: v_dual_add_f32 v69, v191, v70
	v_dual_add_f32 v70, v79, v71 :: v_dual_add_f32 v71, v138, v192
	v_fma_f32 v68, 0x3df6dbef, v91, -v198
	v_fma_f32 v79, 0xbf788fa5, v92, -v201
	v_dual_add_f32 v71, v195, v71 :: v_dual_add_f32 v68, v137, v68
	s_delay_alu instid0(VALU_DEP_1) | instskip(NEXT) | instid1(VALU_DEP_1)
	v_add_f32_e32 v71, v196, v71
	v_add_f32_e32 v71, v194, v71
	s_delay_alu instid0(VALU_DEP_1) | instskip(SKIP_1) | instid1(VALU_DEP_1)
	v_dual_add_f32 v71, v202, v71 :: v_dual_add_f32 v68, v79, v68
	v_fma_f32 v79, 0xbeb58ec6, v93, -v204
	v_dual_add_f32 v71, v205, v71 :: v_dual_add_f32 v68, v79, v68
	v_fma_f32 v79, 0x3f62ad3f, v95, -v203
	s_delay_alu instid0(VALU_DEP_1) | instskip(SKIP_1) | instid1(VALU_DEP_1)
	v_add_f32_e32 v68, v79, v68
	v_fma_f32 v79, 0x3f116cb1, v96, -v200
	v_add_f32_e32 v79, v79, v68
	v_dual_add_f32 v68, v103, v70 :: v_dual_add_f32 v103, v216, v133
	v_add_f32_e32 v133, v138, v219
	s_delay_alu instid0(VALU_DEP_3) | instskip(SKIP_2) | instid1(VALU_DEP_2)
	v_add_f32_e32 v70, v134, v79
	v_fma_f32 v79, 0x3f116cb1, v91, -v211
	v_fma_f32 v91, 0xbeb58ec6, v92, -v215
	v_add_f32_e32 v79, v137, v79
	s_delay_alu instid0(VALU_DEP_1) | instskip(SKIP_1) | instid1(VALU_DEP_2)
	v_add_f32_e32 v79, v91, v79
	v_dual_add_f32 v91, v222, v133 :: v_dual_fmac_f32 v102, 0xbf7e222b, v88
	v_add_f32_e32 v79, v90, v79
	s_delay_alu instid0(VALU_DEP_2) | instskip(NEXT) | instid1(VALU_DEP_1)
	v_add_f32_e32 v88, v102, v91
	v_add_f32_e32 v86, v139, v88
	s_delay_alu instid0(VALU_DEP_1) | instskip(SKIP_3) | instid1(VALU_DEP_3)
	v_dual_add_f32 v77, v77, v86 :: v_dual_add_f32 v78, v87, v79
	v_fma_f32 v79, 0x3df6dbef, v96, -v213
	v_fma_f32 v86, 0xbf788fa5, v97, -v75
	v_lshl_add_u32 v87, v145, 3, v144
	v_dual_add_f32 v75, v74, v77 :: v_dual_add_f32 v76, v79, v78
	v_fma_f32 v78, 0x3f62ad3f, v97, -v199
	v_add_f32_e32 v79, v72, v73
	s_delay_alu instid0(VALU_DEP_2) | instskip(NEXT) | instid1(VALU_DEP_2)
	v_dual_add_f32 v73, v217, v103 :: v_dual_add_f32 v72, v78, v76
	v_add_f32_e32 v74, v86, v79
	ds_store_2addr_b64 v87, v[0:1], v[64:65] offset1:1
	ds_store_2addr_b64 v87, v[100:101], v[98:99] offset0:2 offset1:3
	ds_store_2addr_b64 v87, v[84:85], v[82:83] offset0:4 offset1:5
	;; [unrolled: 1-line block ×5, first 2 shown]
	ds_store_b64 v87, v[74:75] offset:96
.LBB0_13:
	s_wait_alu 0xfffe
	s_or_b32 exec_lo, exec_lo, s0
	global_wb scope:SCOPE_SE
	s_wait_dscnt 0x0
	s_barrier_signal -1
	s_barrier_wait -1
	global_inv scope:SCOPE_SE
	ds_load_2addr_b64 v[0:3], v141 offset0:78 offset1:91
	ds_load_2addr_b64 v[64:67], v141 offset0:182 offset1:195
	;; [unrolled: 1-line block ×3, first 2 shown]
	ds_load_2addr_b64 v[72:75], v141 offset1:13
	ds_load_2addr_b64 v[76:79], v141 offset0:26 offset1:39
	ds_load_2addr_b64 v[80:83], v141 offset0:208 offset1:221
	;; [unrolled: 1-line block ×6, first 2 shown]
	ds_load_b64 v[100:101], v141 offset:2080
	global_wb scope:SCOPE_SE
	s_wait_dscnt 0x0
	s_barrier_signal -1
	s_barrier_wait -1
	global_inv scope:SCOPE_SE
	s_mov_b32 s2, 0x1e01e01e
	s_mov_b32 s3, 0x3f6e01e0
	v_dual_mul_f32 v102, v5, v3 :: v_dual_mul_f32 v133, v7, v65
	v_dual_mul_f32 v103, v5, v2 :: v_dual_mul_f32 v134, v7, v64
	;; [unrolled: 1-line block ×3, first 2 shown]
	s_delay_alu instid0(VALU_DEP_3) | instskip(NEXT) | instid1(VALU_DEP_4)
	v_dual_mul_f32 v5, v5, v68 :: v_dual_fmac_f32 v102, v4, v2
	v_dual_fmac_f32 v133, v6, v64 :: v_dual_mul_f32 v2, v7, v66
	s_delay_alu instid0(VALU_DEP_4)
	v_fma_f32 v3, v4, v3, -v103
	v_fma_f32 v64, v6, v65, -v134
	v_dual_fmac_f32 v135, v4, v68 :: v_dual_mul_f32 v68, v25, v71
	v_fma_f32 v65, v4, v69, -v5
	v_fmac_f32_e32 v136, v6, v66
	v_mul_f32_e32 v4, v25, v70
	v_fma_f32 v25, v6, v67, -v2
	v_dual_mul_f32 v66, v27, v81 :: v_dual_mul_f32 v67, v17, v87
	v_dual_mul_f32 v2, v27, v80 :: v_dual_mul_f32 v27, v21, v85
	v_dual_fmac_f32 v68, v24, v70 :: v_dual_mul_f32 v69, v19, v93
	s_delay_alu instid0(VALU_DEP_3) | instskip(NEXT) | instid1(VALU_DEP_3)
	v_dual_fmac_f32 v66, v26, v80 :: v_dual_add_f32 v5, v72, v102
	v_fmac_f32_e32 v27, v20, v84
	v_fma_f32 v24, v24, v71, -v4
	v_dual_mul_f32 v4, v21, v84 :: v_dual_fmac_f32 v67, v16, v86
	v_fma_f32 v21, v26, v81, -v2
	v_dual_mul_f32 v26, v23, v83 :: v_dual_fmac_f32 v69, v18, v92
	v_mul_f32_e32 v2, v23, v82
	s_delay_alu instid0(VALU_DEP_4) | instskip(SKIP_1) | instid1(VALU_DEP_4)
	v_fma_f32 v20, v20, v85, -v4
	v_mul_f32_e32 v4, v17, v86
	v_dual_fmac_f32 v26, v22, v82 :: v_dual_sub_f32 v7, v3, v64
	s_delay_alu instid0(VALU_DEP_4) | instskip(SKIP_1) | instid1(VALU_DEP_4)
	v_fma_f32 v22, v22, v83, -v2
	v_mul_f32_e32 v2, v19, v92
	v_fma_f32 v23, v16, v87, -v4
	v_dual_mul_f32 v84, v11, v101 :: v_dual_add_f32 v17, v77, v24
	v_mul_f32_e32 v82, v9, v99
	s_delay_alu instid0(VALU_DEP_4)
	v_fma_f32 v71, v18, v93, -v2
	v_mul_f32_e32 v2, v15, v94
	v_sub_f32_e32 v18, v68, v66
	v_add_f32_e32 v6, v3, v64
	v_fmac_f32_e32 v82, v8, v98
	v_add_f32_e32 v19, v27, v26
	v_fma_f32 v83, v14, v95, -v2
	v_dual_mul_f32 v2, v11, v100 :: v_dual_add_f32 v11, v65, v25
	v_mul_f32_e32 v4, v13, v96
	v_fmac_f32_e32 v84, v10, v100
	s_delay_alu instid0(VALU_DEP_3) | instskip(NEXT) | instid1(VALU_DEP_3)
	v_fma_f32 v86, v10, v101, -v2
	v_fma_f32 v81, v12, v97, -v4
	v_dual_mul_f32 v4, v9, v98 :: v_dual_add_f32 v9, v135, v136
	s_delay_alu instid0(VALU_DEP_1) | instskip(SKIP_2) | instid1(VALU_DEP_2)
	v_fma_f32 v85, v8, v99, -v4
	v_add_f32_e32 v4, v102, v133
	v_sub_f32_e32 v8, v102, v133
	v_fma_f32 v2, -0.5, v4, v72
	v_add_f32_e32 v4, v5, v133
	v_add_f32_e32 v5, v73, v3
	v_fma_f32 v3, -0.5, v6, v73
	v_mul_f32_e32 v70, v13, v97
	v_mul_f32_e32 v80, v15, v95
	v_fmamk_f32 v6, v7, 0xbf5db3d7, v2
	s_delay_alu instid0(VALU_DEP_4)
	v_dual_fmac_f32 v2, 0x3f5db3d7, v7 :: v_dual_fmamk_f32 v7, v8, 0x3f5db3d7, v3
	v_fmac_f32_e32 v3, 0xbf5db3d7, v8
	v_fmac_f32_e32 v70, v12, v96
	v_dual_add_f32 v12, v75, v65 :: v_dual_fmac_f32 v75, -0.5, v11
	v_sub_f32_e32 v13, v135, v136
	v_dual_add_f32 v5, v5, v64 :: v_dual_fmac_f32 v80, v14, v94
	v_sub_f32_e32 v15, v24, v21
	s_delay_alu instid0(VALU_DEP_3)
	v_dual_sub_f32 v64, v67, v69 :: v_dual_fmamk_f32 v11, v13, 0x3f5db3d7, v75
	v_fmac_f32_e32 v75, 0xbf5db3d7, v13
	v_add_f32_e32 v13, v24, v21
	v_add_f32_e32 v24, v20, v22
	;; [unrolled: 1-line block ×3, first 2 shown]
	v_fma_f32 v74, -0.5, v9, v74
	v_sub_f32_e32 v9, v65, v25
	v_fma_f32 v13, -0.5, v13, v77
	v_add_f32_e32 v65, v70, v80
	v_add_f32_e32 v8, v10, v136
	;; [unrolled: 1-line block ×3, first 2 shown]
	v_fmamk_f32 v10, v9, 0xbf5db3d7, v74
	v_fmac_f32_e32 v74, 0x3f5db3d7, v9
	v_add_f32_e32 v9, v12, v25
	v_add_f32_e32 v12, v68, v66
	v_dual_add_f32 v25, v88, v67 :: v_dual_add_f32 v68, v91, v81
	v_add_f32_e32 v72, v1, v85
	s_delay_alu instid0(VALU_DEP_3) | instskip(NEXT) | instid1(VALU_DEP_1)
	v_fma_f32 v12, -0.5, v12, v76
	v_fmamk_f32 v16, v15, 0xbf5db3d7, v12
	v_dual_fmac_f32 v12, 0x3f5db3d7, v15 :: v_dual_add_f32 v15, v17, v21
	v_add_f32_e32 v21, v78, v27
	v_fmamk_f32 v17, v18, 0x3f5db3d7, v13
	v_fmac_f32_e32 v13, 0xbf5db3d7, v18
	v_fma_f32 v78, -0.5, v19, v78
	v_sub_f32_e32 v19, v20, v22
	v_dual_add_f32 v18, v21, v26 :: v_dual_add_f32 v21, v79, v20
	s_delay_alu instid0(VALU_DEP_2) | instskip(NEXT) | instid1(VALU_DEP_2)
	v_dual_sub_f32 v73, v82, v84 :: v_dual_fmamk_f32 v20, v19, 0xbf5db3d7, v78
	v_dual_fmac_f32 v78, 0x3f5db3d7, v19 :: v_dual_add_f32 v19, v21, v22
	v_dual_add_f32 v22, v67, v69 :: v_dual_add_f32 v67, v81, v83
	v_dual_fmac_f32 v79, -0.5, v24 :: v_dual_sub_f32 v24, v27, v26
	v_sub_f32_e32 v27, v23, v71
	s_delay_alu instid0(VALU_DEP_3) | instskip(NEXT) | instid1(VALU_DEP_4)
	v_fma_f32 v22, -0.5, v22, v88
	v_fmac_f32_e32 v91, -0.5, v67
	s_delay_alu instid0(VALU_DEP_4) | instskip(SKIP_3) | instid1(VALU_DEP_2)
	v_fmamk_f32 v21, v24, 0x3f5db3d7, v79
	v_dual_fmac_f32 v79, 0xbf5db3d7, v24 :: v_dual_add_f32 v24, v25, v69
	v_dual_sub_f32 v69, v70, v80 :: v_dual_add_f32 v26, v23, v71
	v_dual_add_f32 v25, v89, v23 :: v_dual_add_f32 v14, v14, v66
	v_fmamk_f32 v67, v69, 0x3f5db3d7, v91
	v_fmac_f32_e32 v91, 0xbf5db3d7, v69
	s_delay_alu instid0(VALU_DEP_3) | instskip(SKIP_3) | instid1(VALU_DEP_3)
	v_add_f32_e32 v25, v25, v71
	v_add_f32_e32 v69, v85, v86
	v_fma_f32 v23, -0.5, v26, v89
	v_dual_fmamk_f32 v26, v27, 0xbf5db3d7, v22 :: v_dual_sub_f32 v71, v85, v86
	v_dual_fmac_f32 v22, 0x3f5db3d7, v27 :: v_dual_fmac_f32 v1, -0.5, v69
	v_add_f32_e32 v66, v90, v70
	v_fma_f32 v90, -0.5, v65, v90
	v_sub_f32_e32 v65, v81, v83
	v_fmamk_f32 v27, v64, 0x3f5db3d7, v23
	v_fmac_f32_e32 v23, 0xbf5db3d7, v64
	v_dual_add_f32 v64, v66, v80 :: v_dual_add_f32 v69, v72, v86
	s_delay_alu instid0(VALU_DEP_4) | instskip(SKIP_3) | instid1(VALU_DEP_2)
	v_fmamk_f32 v66, v65, 0xbf5db3d7, v90
	v_dual_fmac_f32 v90, 0x3f5db3d7, v65 :: v_dual_add_f32 v65, v68, v83
	v_add_f32_e32 v68, v82, v84
	v_add_f32_e32 v70, v0, v82
	v_fma_f32 v0, -0.5, v68, v0
	s_delay_alu instid0(VALU_DEP_2) | instskip(NEXT) | instid1(VALU_DEP_2)
	v_add_f32_e32 v68, v70, v84
	v_fmamk_f32 v70, v71, 0xbf5db3d7, v0
	v_dual_fmac_f32 v0, 0x3f5db3d7, v71 :: v_dual_fmamk_f32 v71, v73, 0x3f5db3d7, v1
	v_fmac_f32_e32 v1, 0xbf5db3d7, v73
	ds_store_2addr_b64 v141, v[4:5], v[6:7] offset1:13
	ds_store_2addr_b64 v141, v[2:3], v[8:9] offset0:26 offset1:39
	ds_store_2addr_b64 v141, v[10:11], v[74:75] offset0:52 offset1:65
	;; [unrolled: 1-line block ×6, first 2 shown]
	ds_store_b64 v148, v[12:13] offset:832
	ds_store_b64 v149, v[78:79] offset:1144
	ds_store_b64 v150, v[22:23] offset:1456
	ds_store_b64 v147, v[90:91] offset:1768
	ds_store_2addr_b64 v146, v[68:69], v[70:71] offset0:234 offset1:247
	ds_store_b64 v146, v[0:1] offset:2080
	global_wb scope:SCOPE_SE
	s_wait_dscnt 0x0
	s_barrier_signal -1
	s_barrier_wait -1
	global_inv scope:SCOPE_SE
	ds_load_2addr_b64 v[0:3], v141 offset0:26 offset1:39
	ds_load_2addr_b64 v[4:7], v141 offset0:78 offset1:91
	;; [unrolled: 1-line block ×4, first 2 shown]
	ds_load_2addr_b64 v[16:19], v141 offset1:13
	ds_load_2addr_b64 v[20:23], v141 offset0:182 offset1:195
	ds_load_2addr_b64 v[24:27], v141 offset0:234 offset1:247
	;; [unrolled: 1-line block ×5, first 2 shown]
	ds_load_b64 v[76:77], v141 offset:2080
	s_wait_dscnt 0xa
	v_mul_f32_e32 v78, v57, v3
	s_wait_dscnt 0x8
	v_mul_f32_e32 v79, v45, v11
	v_mul_f32_e32 v45, v45, v10
	s_delay_alu instid0(VALU_DEP_3) | instskip(SKIP_4) | instid1(VALU_DEP_3)
	v_fmac_f32_e32 v78, v56, v2
	v_dual_mul_f32 v2, v57, v2 :: v_dual_mul_f32 v57, v59, v5
	v_mul_f32_e32 v59, v59, v4
	s_wait_dscnt 0x7
	v_dual_fmac_f32 v79, v44, v10 :: v_dual_mul_f32 v10, v47, v12
	v_fma_f32 v2, v56, v3, -v2
	v_fmac_f32_e32 v57, v58, v4
	v_fma_f32 v3, v58, v5, -v59
	v_fma_f32 v4, v44, v11, -v45
	v_mul_f32_e32 v5, v47, v13
	s_wait_dscnt 0x5
	v_mul_f32_e32 v11, v29, v23
	s_wait_dscnt 0x4
	v_dual_mul_f32 v29, v29, v22 :: v_dual_mul_f32 v44, v31, v25
	v_fma_f32 v10, v46, v13, -v10
	v_fmac_f32_e32 v5, v46, v12
	v_fmac_f32_e32 v11, v28, v22
	s_delay_alu instid0(VALU_DEP_4)
	v_fma_f32 v12, v28, v23, -v29
	v_fmac_f32_e32 v44, v30, v24
	v_mul_f32_e32 v13, v31, v24
	s_wait_dscnt 0x3
	v_dual_mul_f32 v23, v61, v64 :: v_dual_mul_f32 v24, v63, v7
	v_mul_f32_e32 v28, v63, v6
	v_dual_mul_f32 v29, v51, v15 :: v_dual_mul_f32 v22, v61, v65
	v_fma_f32 v13, v30, v25, -v13
	s_wait_dscnt 0x2
	v_dual_fmac_f32 v24, v62, v6 :: v_dual_mul_f32 v47, v41, v71
	v_fma_f32 v25, v62, v7, -v28
	v_dual_mul_f32 v6, v49, v68 :: v_dual_mul_f32 v7, v51, v14
	v_mul_f32_e32 v28, v49, v69
	s_wait_dscnt 0x1
	v_dual_mul_f32 v30, v33, v73 :: v_dual_fmac_f32 v29, v50, v14
	v_fmac_f32_e32 v22, v60, v64
	v_fma_f32 v31, v48, v69, -v6
	v_fma_f32 v45, v50, v15, -v7
	v_dual_mul_f32 v6, v33, v72 :: v_dual_fmac_f32 v47, v40, v70
	v_mul_f32_e32 v33, v35, v27
	v_mul_f32_e32 v7, v35, v26
	v_dual_mul_f32 v35, v53, v67 :: v_dual_fmac_f32 v28, v48, v68
	s_delay_alu instid0(VALU_DEP_3) | instskip(NEXT) | instid1(VALU_DEP_3)
	v_dual_mul_f32 v46, v55, v9 :: v_dual_fmac_f32 v33, v34, v26
	v_fma_f32 v26, v34, v27, -v7
	s_delay_alu instid0(VALU_DEP_3)
	v_fmac_f32_e32 v35, v52, v66
	v_fmac_f32_e32 v30, v32, v72
	v_fma_f32 v32, v32, v73, -v6
	v_dual_mul_f32 v6, v55, v8 :: v_dual_mul_f32 v7, v41, v70
	v_dual_mul_f32 v41, v43, v21 :: v_dual_mul_f32 v14, v53, v66
	v_fma_f32 v23, v60, v65, -v23
	s_delay_alu instid0(VALU_DEP_3) | instskip(NEXT) | instid1(VALU_DEP_3)
	v_fma_f32 v40, v40, v71, -v7
	v_fmac_f32_e32 v41, v42, v20
	v_mul_f32_e32 v7, v37, v74
	v_fma_f32 v48, v54, v9, -v6
	v_dual_mul_f32 v6, v43, v20 :: v_dual_mul_f32 v43, v37, v75
	s_wait_dscnt 0x0
	v_dual_fmac_f32 v46, v54, v8 :: v_dual_mul_f32 v37, v39, v77
	v_dual_mul_f32 v8, v39, v76 :: v_dual_add_f32 v9, v57, v11
	s_delay_alu instid0(VALU_DEP_3)
	v_fmac_f32_e32 v43, v36, v74
	v_fma_f32 v39, v42, v21, -v6
	v_fma_f32 v36, v36, v75, -v7
	v_add_f32_e32 v7, v2, v13
	v_add_f32_e32 v6, v78, v44
	v_dual_sub_f32 v2, v2, v13 :: v_dual_add_f32 v13, v3, v12
	v_fma_f32 v34, v52, v67, -v14
	v_fmac_f32_e32 v37, v38, v76
	v_fma_f32 v38, v38, v77, -v8
	v_dual_sub_f32 v8, v78, v44 :: v_dual_sub_f32 v11, v57, v11
	v_dual_sub_f32 v3, v3, v12 :: v_dual_add_f32 v14, v4, v10
	v_dual_add_f32 v12, v79, v5 :: v_dual_sub_f32 v5, v5, v79
	v_sub_f32_e32 v4, v10, v4
	v_add_f32_e32 v10, v9, v6
	v_add_f32_e32 v15, v13, v7
	v_sub_f32_e32 v20, v9, v6
	v_dual_sub_f32 v21, v13, v7 :: v_dual_sub_f32 v6, v6, v12
	v_dual_sub_f32 v7, v7, v14 :: v_dual_add_f32 v42, v4, v3
	v_sub_f32_e32 v9, v12, v9
	v_dual_add_f32 v27, v5, v11 :: v_dual_add_f32 v10, v12, v10
	v_dual_sub_f32 v44, v5, v11 :: v_dual_sub_f32 v5, v8, v5
	v_dual_sub_f32 v11, v11, v8 :: v_dual_add_f32 v12, v14, v15
	v_sub_f32_e32 v13, v14, v13
	v_dual_sub_f32 v49, v4, v3 :: v_dual_sub_f32 v14, v3, v2
	v_sub_f32_e32 v4, v2, v4
	v_dual_add_f32 v8, v27, v8 :: v_dual_add_f32 v15, v42, v2
	v_dual_add_f32 v2, v16, v10 :: v_dual_add_f32 v3, v17, v12
	v_dual_mul_f32 v6, 0x3f4a47b2, v6 :: v_dual_mul_f32 v7, 0x3f4a47b2, v7
	v_mul_f32_e32 v16, 0x3d64c772, v9
	v_dual_mul_f32 v27, 0x3f08b237, v44 :: v_dual_mul_f32 v42, 0x3f08b237, v49
	v_dual_mul_f32 v44, 0xbf5ff5aa, v11 :: v_dual_mul_f32 v49, 0xbf5ff5aa, v14
	s_delay_alu instid0(VALU_DEP_4)
	v_fmamk_f32 v9, v9, 0x3d64c772, v6
	v_fma_f32 v6, 0xbf3bfb3b, v20, -v6
	v_fmamk_f32 v12, v12, 0xbf955555, v3
	v_fmamk_f32 v10, v10, 0xbf955555, v2
	v_mul_f32_e32 v17, 0x3d64c772, v13
	v_fmamk_f32 v13, v13, 0x3d64c772, v7
	v_fma_f32 v16, 0x3f3bfb3b, v20, -v16
	v_fma_f32 v7, 0xbf3bfb3b, v21, -v7
	v_fmamk_f32 v20, v5, 0xbeae86e6, v27
	v_fma_f32 v11, 0xbf5ff5aa, v11, -v27
	v_fma_f32 v14, 0xbf5ff5aa, v14, -v42
	v_fma_f32 v27, 0x3eae86e6, v5, -v44
	v_add_f32_e32 v44, v9, v10
	v_fma_f32 v17, 0x3f3bfb3b, v21, -v17
	v_fmamk_f32 v21, v4, 0xbeae86e6, v42
	v_fma_f32 v42, 0x3eae86e6, v4, -v49
	v_add_f32_e32 v49, v13, v12
	s_delay_alu instid0(VALU_DEP_4) | instskip(SKIP_4) | instid1(VALU_DEP_3)
	v_dual_add_f32 v13, v16, v10 :: v_dual_add_f32 v16, v17, v12
	v_dual_add_f32 v17, v6, v10 :: v_dual_add_f32 v50, v7, v12
	v_dual_fmac_f32 v20, 0xbee1c552, v8 :: v_dual_fmac_f32 v21, 0xbee1c552, v15
	v_dual_fmac_f32 v11, 0xbee1c552, v8 :: v_dual_fmac_f32 v42, 0xbee1c552, v15
	;; [unrolled: 1-line block ×3, first 2 shown]
	v_add_f32_e32 v4, v21, v44
	s_delay_alu instid0(VALU_DEP_3) | instskip(NEXT) | instid1(VALU_DEP_3)
	v_dual_sub_f32 v5, v49, v20 :: v_dual_add_f32 v6, v42, v17
	v_dual_add_f32 v9, v11, v16 :: v_dual_sub_f32 v8, v13, v14
	v_dual_add_f32 v10, v14, v13 :: v_dual_sub_f32 v11, v16, v11
	v_dual_sub_f32 v12, v17, v42 :: v_dual_add_f32 v15, v20, v49
	v_dual_add_f32 v13, v27, v50 :: v_dual_sub_f32 v14, v44, v21
	v_dual_add_f32 v16, v22, v33 :: v_dual_add_f32 v17, v23, v26
	v_dual_sub_f32 v20, v22, v33 :: v_dual_sub_f32 v21, v23, v26
	v_dual_add_f32 v22, v24, v30 :: v_dual_add_f32 v23, v25, v32
	v_dual_sub_f32 v7, v50, v27 :: v_dual_sub_f32 v24, v24, v30
	v_dual_sub_f32 v25, v25, v32 :: v_dual_add_f32 v26, v28, v29
	v_dual_add_f32 v27, v31, v45 :: v_dual_sub_f32 v28, v29, v28
	s_delay_alu instid0(VALU_DEP_4) | instskip(SKIP_1) | instid1(VALU_DEP_4)
	v_dual_sub_f32 v29, v45, v31 :: v_dual_add_f32 v30, v22, v16
	v_dual_add_f32 v31, v23, v17 :: v_dual_sub_f32 v32, v22, v16
	v_dual_sub_f32 v33, v23, v17 :: v_dual_sub_f32 v42, v16, v26
	s_delay_alu instid0(VALU_DEP_4)
	v_sub_f32_e32 v23, v27, v23
	v_dual_sub_f32 v44, v17, v27 :: v_dual_sub_f32 v45, v28, v24
	v_dual_sub_f32 v22, v26, v22 :: v_dual_add_f32 v17, v29, v25
	v_dual_add_f32 v16, v28, v24 :: v_dual_sub_f32 v49, v29, v25
	v_dual_sub_f32 v24, v24, v20 :: v_dual_add_f32 v27, v27, v31
	v_dual_add_f32 v26, v26, v30 :: v_dual_sub_f32 v25, v25, v21
	v_dual_sub_f32 v28, v20, v28 :: v_dual_sub_f32 v29, v21, v29
	s_delay_alu instid0(VALU_DEP_4) | instskip(NEXT) | instid1(VALU_DEP_3)
	v_dual_add_f32 v20, v16, v20 :: v_dual_add_f32 v21, v17, v21
	v_dual_add_f32 v16, v18, v26 :: v_dual_add_f32 v17, v19, v27
	v_dual_mul_f32 v18, 0x3f4a47b2, v42 :: v_dual_mul_f32 v19, 0x3f4a47b2, v44
	v_dual_mul_f32 v30, 0x3d64c772, v22 :: v_dual_mul_f32 v31, 0x3d64c772, v23
	s_delay_alu instid0(VALU_DEP_3) | instskip(NEXT) | instid1(VALU_DEP_3)
	v_dual_fmamk_f32 v26, v26, 0xbf955555, v16 :: v_dual_fmamk_f32 v27, v27, 0xbf955555, v17
	v_dual_fmamk_f32 v22, v22, 0x3d64c772, v18 :: v_dual_fmamk_f32 v23, v23, 0x3d64c772, v19
	v_mul_f32_e32 v42, 0x3f08b237, v45
	v_mul_f32_e32 v45, 0xbf5ff5aa, v24
	v_fma_f32 v30, 0x3f3bfb3b, v32, -v30
	v_mul_f32_e32 v44, 0x3f08b237, v49
	v_fma_f32 v31, 0x3f3bfb3b, v33, -v31
	;; [unrolled: 2-line block ×3, first 2 shown]
	v_fma_f32 v19, 0xbf3bfb3b, v33, -v19
	v_fmamk_f32 v32, v28, 0xbeae86e6, v42
	v_fma_f32 v28, 0x3eae86e6, v28, -v45
	v_add_f32_e32 v45, v23, v27
	v_fma_f32 v42, 0xbf5ff5aa, v24, -v42
	v_fma_f32 v24, 0xbf5ff5aa, v25, -v44
	v_add_f32_e32 v25, v30, v26
	v_dual_fmamk_f32 v33, v29, 0xbeae86e6, v44 :: v_dual_add_f32 v30, v31, v27
	v_fma_f32 v29, 0x3eae86e6, v29, -v49
	v_add_f32_e32 v44, v22, v26
	v_dual_add_f32 v26, v18, v26 :: v_dual_add_f32 v27, v19, v27
	s_delay_alu instid0(VALU_DEP_4) | instskip(NEXT) | instid1(VALU_DEP_4)
	v_dual_fmac_f32 v32, 0xbee1c552, v20 :: v_dual_fmac_f32 v33, 0xbee1c552, v21
	v_dual_fmac_f32 v42, 0xbee1c552, v20 :: v_dual_fmac_f32 v29, 0xbee1c552, v21
	v_fmac_f32_e32 v28, 0xbee1c552, v20
	s_delay_alu instid0(VALU_DEP_3) | instskip(NEXT) | instid1(VALU_DEP_3)
	v_dual_fmac_f32 v24, 0xbee1c552, v21 :: v_dual_sub_f32 v19, v45, v32
	v_dual_add_f32 v18, v33, v44 :: v_dual_add_f32 v23, v42, v30
	s_delay_alu instid0(VALU_DEP_3) | instskip(NEXT) | instid1(VALU_DEP_3)
	v_dual_add_f32 v20, v29, v26 :: v_dual_sub_f32 v21, v27, v28
	v_dual_sub_f32 v22, v25, v24 :: v_dual_add_f32 v27, v28, v27
	v_dual_add_f32 v24, v24, v25 :: v_dual_add_f32 v31, v34, v38
	v_sub_f32_e32 v25, v30, v42
	v_sub_f32_e32 v26, v26, v29
	v_dual_sub_f32 v28, v44, v33 :: v_dual_sub_f32 v33, v34, v38
	v_dual_add_f32 v29, v32, v45 :: v_dual_add_f32 v34, v46, v43
	v_add_f32_e32 v30, v35, v37
	v_dual_sub_f32 v32, v35, v37 :: v_dual_add_f32 v35, v48, v36
	v_dual_sub_f32 v37, v46, v43 :: v_dual_sub_f32 v36, v48, v36
	v_dual_add_f32 v42, v40, v39 :: v_dual_sub_f32 v39, v39, v40
	v_dual_add_f32 v38, v47, v41 :: v_dual_sub_f32 v41, v41, v47
	s_delay_alu instid0(VALU_DEP_4) | instskip(SKIP_1) | instid1(VALU_DEP_4)
	v_dual_add_f32 v40, v34, v30 :: v_dual_sub_f32 v45, v35, v31
	v_dual_add_f32 v43, v35, v31 :: v_dual_sub_f32 v44, v34, v30
	v_add_f32_e32 v47, v39, v36
	s_delay_alu instid0(VALU_DEP_4) | instskip(SKIP_3) | instid1(VALU_DEP_4)
	v_dual_sub_f32 v31, v31, v42 :: v_dual_add_f32 v46, v41, v37
	v_sub_f32_e32 v35, v42, v35
	v_dual_sub_f32 v30, v30, v38 :: v_dual_sub_f32 v49, v39, v36
	v_sub_f32_e32 v34, v38, v34
	v_dual_sub_f32 v48, v41, v37 :: v_dual_mul_f32 v31, 0x3f4a47b2, v31
	v_dual_sub_f32 v39, v33, v39 :: v_dual_add_f32 v38, v38, v40
	v_dual_sub_f32 v37, v37, v32 :: v_dual_add_f32 v40, v42, v43
	v_dual_sub_f32 v36, v36, v33 :: v_dual_mul_f32 v43, 0x3d64c772, v35
	s_delay_alu instid0(VALU_DEP_3) | instskip(SKIP_1) | instid1(VALU_DEP_4)
	v_add_f32_e32 v0, v0, v38
	v_sub_f32_e32 v41, v32, v41
	v_add_f32_e32 v1, v1, v40
	v_dual_add_f32 v32, v46, v32 :: v_dual_add_f32 v33, v47, v33
	v_dual_mul_f32 v46, 0x3f08b237, v48 :: v_dual_mul_f32 v47, 0x3f08b237, v49
	v_dual_mul_f32 v48, 0xbf5ff5aa, v37 :: v_dual_mul_f32 v49, 0xbf5ff5aa, v36
	s_delay_alu instid0(VALU_DEP_4) | instskip(SKIP_3) | instid1(VALU_DEP_3)
	v_fmamk_f32 v40, v40, 0xbf955555, v1
	v_fma_f32 v43, 0x3f3bfb3b, v45, -v43
	v_dual_mul_f32 v42, 0x3d64c772, v34 :: v_dual_fmamk_f32 v35, v35, 0x3d64c772, v31
	v_mul_f32_e32 v30, 0x3f4a47b2, v30
	v_dual_fmamk_f32 v38, v38, 0xbf955555, v0 :: v_dual_add_f32 v43, v43, v40
	v_fma_f32 v31, 0xbf3bfb3b, v45, -v31
	v_fmamk_f32 v45, v39, 0xbeae86e6, v47
	v_fma_f32 v37, 0xbf5ff5aa, v37, -v46
	v_fma_f32 v36, 0xbf5ff5aa, v36, -v47
	;; [unrolled: 1-line block ×4, first 2 shown]
	v_add_f32_e32 v47, v35, v40
	v_add_f32_e32 v40, v31, v40
	v_dual_fmac_f32 v37, 0xbee1c552, v32 :: v_dual_fmac_f32 v36, 0xbee1c552, v33
	v_fmac_f32_e32 v39, 0xbee1c552, v33
	v_fmamk_f32 v34, v34, 0x3d64c772, v30
	v_fma_f32 v30, 0xbf3bfb3b, v44, -v30
	v_fmamk_f32 v44, v41, 0xbeae86e6, v46
	v_fma_f32 v41, 0x3eae86e6, v41, -v48
	v_dual_add_f32 v42, v42, v38 :: v_dual_fmac_f32 v45, 0xbee1c552, v33
	v_add_f32_e32 v35, v37, v43
	v_sub_f32_e32 v37, v43, v37
	s_delay_alu instid0(VALU_DEP_4) | instskip(NEXT) | instid1(VALU_DEP_1)
	v_fmac_f32_e32 v41, 0xbee1c552, v32
	v_dual_fmac_f32 v44, 0xbee1c552, v32 :: v_dual_sub_f32 v33, v40, v41
	v_add_f32_e32 v46, v34, v38
	s_delay_alu instid0(VALU_DEP_2) | instskip(SKIP_2) | instid1(VALU_DEP_4)
	v_dual_add_f32 v38, v30, v38 :: v_dual_sub_f32 v31, v47, v44
	v_sub_f32_e32 v34, v42, v36
	v_add_f32_e32 v36, v36, v42
	v_add_f32_e32 v30, v45, v46
	s_delay_alu instid0(VALU_DEP_4)
	v_add_f32_e32 v32, v39, v38
	v_dual_sub_f32 v38, v38, v39 :: v_dual_add_f32 v39, v41, v40
	v_dual_sub_f32 v40, v46, v45 :: v_dual_add_f32 v41, v44, v47
	ds_store_2addr_b64 v141, v[2:3], v[16:17] offset1:13
	ds_store_2addr_b64 v141, v[18:19], v[6:7] offset0:52 offset1:78
	ds_store_2addr_b64 v141, v[20:21], v[8:9] offset0:91 offset1:117
	ds_store_2addr_b64 v141, v[22:23], v[10:11] offset0:130 offset1:156
	ds_store_2addr_b64 v141, v[24:25], v[12:13] offset0:169 offset1:195
	ds_store_2addr_b64 v141, v[26:27], v[14:15] offset0:208 offset1:234
	ds_store_b64 v141, v[28:29] offset:1976
	ds_store_2addr_b64 v141, v[0:1], v[4:5] offset0:26 offset1:39
	ds_store_2addr_b64 v152, v[30:31], v[32:33] offset0:39 offset1:78
	;; [unrolled: 1-line block ×4, first 2 shown]
	global_wb scope:SCOPE_SE
	s_wait_dscnt 0x0
	s_barrier_signal -1
	s_barrier_wait -1
	global_inv scope:SCOPE_SE
	ds_load_2addr_b64 v[0:3], v141 offset1:21
	v_mad_co_u64_u32 v[20:21], null, s4, v143, 0
	s_wait_dscnt 0x0
	v_mul_f32_e32 v4, v130, v1
	v_dual_mul_f32 v5, v130, v0 :: v_dual_mul_f32 v8, v132, v3
	s_delay_alu instid0(VALU_DEP_2) | instskip(SKIP_1) | instid1(VALU_DEP_3)
	v_fmac_f32_e32 v4, v129, v0
	v_mul_f32_e32 v0, v132, v2
	v_fma_f32 v1, v129, v1, -v5
	s_delay_alu instid0(VALU_DEP_4) | instskip(NEXT) | instid1(VALU_DEP_4)
	v_fmac_f32_e32 v8, v131, v2
	v_cvt_f64_f32_e32 v[4:5], v4
	s_delay_alu instid0(VALU_DEP_4) | instskip(NEXT) | instid1(VALU_DEP_4)
	v_fma_f32 v0, v131, v3, -v0
	v_cvt_f64_f32_e32 v[6:7], v1
	s_delay_alu instid0(VALU_DEP_2) | instskip(SKIP_4) | instid1(VALU_DEP_2)
	v_cvt_f64_f32_e32 v[10:11], v0
	ds_load_2addr_b64 v[0:3], v141 offset0:42 offset1:63
	s_wait_dscnt 0x0
	v_mul_f32_e32 v16, v128, v1
	v_mul_f32_e32 v17, v128, v0
	v_fmac_f32_e32 v16, v127, v0
	s_wait_alu 0xfffe
	v_mul_f64_e32 v[12:13], s[2:3], v[4:5]
	s_delay_alu instid0(VALU_DEP_3)
	v_fma_f32 v4, v127, v1, -v17
	v_mul_f64_e32 v[14:15], s[2:3], v[6:7]
	v_mov_b32_e32 v5, v21
	v_mul_f64_e32 v[0:1], s[2:3], v[10:11]
	v_mad_co_u64_u32 v[10:11], null, s6, v118, 0
	v_cvt_f64_f32_e32 v[18:19], v4
	s_delay_alu instid0(VALU_DEP_2) | instskip(NEXT) | instid1(VALU_DEP_1)
	v_mov_b32_e32 v4, v11
	v_mad_co_u64_u32 v[21:22], null, s7, v118, v[4:5]
	v_mad_co_u64_u32 v[22:23], null, s5, v143, v[5:6]
	ds_load_2addr_b64 v[4:7], v141 offset0:84 offset1:105
	s_mul_u64 s[6:7], s[4:5], 21
	s_wait_alu 0xfffe
	s_lshl_b64 s[6:7], s[6:7], 3
	v_mov_b32_e32 v11, v21
	v_mov_b32_e32 v21, v22
	s_delay_alu instid0(VALU_DEP_2) | instskip(NEXT) | instid1(VALU_DEP_2)
	v_lshlrev_b64_e32 v[24:25], 3, v[10:11]
	v_lshlrev_b64_e32 v[20:21], 3, v[20:21]
	v_cvt_f32_f64_e32 v22, v[12:13]
	v_cvt_f32_f64_e32 v23, v[14:15]
	v_cvt_f32_f64_e32 v27, v[0:1]
	v_mul_f32_e32 v0, v124, v3
	s_wait_dscnt 0x0
	v_dual_mul_f32 v1, v124, v2 :: v_dual_mul_f32 v12, v126, v5
	v_mul_f32_e32 v13, v111, v7
	v_mul_f64_e32 v[18:19], s[2:3], v[18:19]
	v_fmac_f32_e32 v0, v123, v2
	v_mul_f32_e32 v2, v126, v4
	v_fma_f32 v1, v123, v3, -v1
	v_dual_fmac_f32 v12, v125, v4 :: v_dual_fmac_f32 v13, v110, v6
	s_delay_alu instid0(VALU_DEP_4) | instskip(NEXT) | instid1(VALU_DEP_4)
	v_cvt_f64_f32_e32 v[28:29], v0
	v_fma_f32 v14, v125, v5, -v2
	s_delay_alu instid0(VALU_DEP_4)
	v_cvt_f64_f32_e32 v[4:5], v1
	ds_load_2addr_b64 v[0:3], v141 offset0:168 offset1:189
	v_cvt_f64_f32_e32 v[30:31], v12
	v_cvt_f64_f32_e32 v[34:35], v13
	;; [unrolled: 1-line block ×3, first 2 shown]
	ds_load_2addr_b64 v[12:15], v141 offset0:210 offset1:231
	v_mul_f32_e32 v6, v111, v6
	s_delay_alu instid0(VALU_DEP_1) | instskip(NEXT) | instid1(VALU_DEP_1)
	v_fma_f32 v6, v110, v7, -v6
	v_cvt_f64_f32_e32 v[6:7], v6
	s_wait_dscnt 0x1
	v_mul_f32_e32 v44, v113, v3
	v_dual_mul_f32 v45, v113, v2 :: v_dual_mul_f32 v42, v107, v1
	s_wait_dscnt 0x0
	v_dual_mul_f32 v43, v107, v0 :: v_dual_mul_f32 v48, v109, v13
	s_delay_alu instid0(VALU_DEP_3) | instskip(NEXT) | instid1(VALU_DEP_3)
	v_fmac_f32_e32 v44, v112, v2
	v_fma_f32 v2, v112, v3, -v45
	v_mul_f32_e32 v3, v120, v15
	v_cvt_f64_f32_e32 v[8:9], v8
	v_fmac_f32_e32 v48, v108, v12
	v_fmac_f32_e32 v42, v106, v0
	v_cvt_f64_f32_e32 v[46:47], v2
	v_dual_fmac_f32 v3, v119, v14 :: v_dual_mul_f32 v2, v109, v12
	v_mul_f32_e32 v12, v120, v14
	v_fma_f32 v43, v106, v1, -v43
	v_cvt_f64_f32_e32 v[0:1], v42
	v_cvt_f64_f32_e32 v[44:45], v44
	v_fma_f32 v2, v108, v13, -v2
	v_fma_f32 v52, v119, v15, -v12
	v_cvt_f64_f32_e32 v[42:43], v43
	v_cvt_f64_f32_e32 v[48:49], v48
	;; [unrolled: 1-line block ×4, first 2 shown]
	v_add_co_u32 v2, s0, s10, v24
	s_wait_alu 0xf1ff
	v_add_co_ci_u32_e64 v3, s0, s11, v25, s0
	v_mul_f64_e32 v[24:25], s[2:3], v[28:29]
	v_mul_f64_e32 v[4:5], s[2:3], v[4:5]
	;; [unrolled: 1-line block ×6, first 2 shown]
	v_add_co_u32 v20, s0, v2, v20
	s_wait_alu 0xf1ff
	v_add_co_ci_u32_e64 v21, s0, v3, v21, s0
	s_wait_alu 0xfffe
	s_delay_alu instid0(VALU_DEP_2) | instskip(SKIP_1) | instid1(VALU_DEP_2)
	v_add_co_u32 v32, s0, v20, s6
	s_wait_alu 0xf1ff
	v_add_co_ci_u32_e64 v33, s0, s7, v21, s0
	v_mul_f64_e32 v[8:9], s[2:3], v[8:9]
	v_mul_f64_e32 v[0:1], s[2:3], v[0:1]
	;; [unrolled: 1-line block ×4, first 2 shown]
	v_cvt_f32_f64_e32 v24, v[24:25]
	v_cvt_f32_f64_e32 v25, v[4:5]
	;; [unrolled: 1-line block ×5, first 2 shown]
	ds_load_2addr_b64 v[8:11], v141 offset0:126 offset1:147
	s_wait_dscnt 0x0
	v_mul_f32_e32 v36, v115, v9
	v_dual_mul_f32 v37, v115, v8 :: v_dual_mul_f32 v38, v117, v11
	v_mul_f32_e32 v39, v117, v10
	v_cvt_f64_f32_e32 v[16:17], v16
	s_delay_alu instid0(VALU_DEP_4) | instskip(NEXT) | instid1(VALU_DEP_4)
	v_fmac_f32_e32 v36, v114, v8
	v_fma_f32 v37, v114, v9, -v37
	v_fmac_f32_e32 v38, v116, v10
	v_fma_f32 v40, v116, v11, -v39
	s_delay_alu instid0(VALU_DEP_4) | instskip(NEXT) | instid1(VALU_DEP_4)
	v_cvt_f64_f32_e32 v[8:9], v36
	v_cvt_f64_f32_e32 v[10:11], v37
	s_delay_alu instid0(VALU_DEP_4)
	v_cvt_f64_f32_e32 v[36:37], v38
	ds_load_b64 v[38:39], v141 offset:2016
	v_cvt_f64_f32_e32 v[40:41], v40
	s_clause 0x1
	global_store_b64 v[20:21], v[22:23], off
	global_store_b64 v[32:33], v[26:27], off
	v_mul_f64_e32 v[26:27], s[2:3], v[42:43]
	v_mul_f64_e32 v[42:43], s[2:3], v[48:49]
	s_wait_dscnt 0x0
	v_mul_f32_e32 v50, v122, v39
	v_mul_f32_e32 v51, v122, v38
	s_delay_alu instid0(VALU_DEP_2) | instskip(NEXT) | instid1(VALU_DEP_2)
	v_fmac_f32_e32 v50, v121, v38
	v_fma_f32 v53, v121, v39, -v51
	v_cvt_f64_f32_e32 v[38:39], v52
	v_mul_f64_e32 v[16:17], s[2:3], v[16:17]
	s_delay_alu instid0(VALU_DEP_4) | instskip(NEXT) | instid1(VALU_DEP_4)
	v_cvt_f64_f32_e32 v[50:51], v50
	v_cvt_f64_f32_e32 v[52:53], v53
	v_mul_f64_e32 v[8:9], s[2:3], v[8:9]
	v_mul_f64_e32 v[10:11], s[2:3], v[10:11]
	;; [unrolled: 1-line block ×7, first 2 shown]
	v_cvt_f32_f64_e32 v16, v[16:17]
	v_mul_f64_e32 v[44:45], s[2:3], v[50:51]
	v_mul_f64_e32 v[46:47], s[2:3], v[52:53]
	v_cvt_f32_f64_e32 v17, v[18:19]
	v_add_co_u32 v18, s0, v32, s6
	s_wait_alu 0xf1ff
	v_add_co_ci_u32_e64 v19, s0, s7, v33, s0
	v_cvt_f32_f64_e32 v32, v[34:35]
	v_cvt_f32_f64_e32 v33, v[6:7]
	v_add_co_u32 v4, s0, v18, s6
	s_wait_alu 0xf1ff
	v_add_co_ci_u32_e64 v5, s0, s7, v19, s0
	v_cvt_f32_f64_e32 v6, v[8:9]
	;; [unrolled: 5-line block ×3, first 2 shown]
	s_delay_alu instid0(VALU_DEP_3) | instskip(SKIP_1) | instid1(VALU_DEP_3)
	v_add_co_u32 v8, s0, v30, s6
	s_wait_alu 0xf1ff
	v_add_co_ci_u32_e64 v9, s0, s7, v31, s0
	v_cvt_f32_f64_e32 v11, v[22:23]
	v_cvt_f32_f64_e32 v20, v[0:1]
	;; [unrolled: 1-line block ×5, first 2 shown]
	v_add_co_u32 v0, s0, v8, s6
	v_cvt_f32_f64_e32 v26, v[42:43]
	v_cvt_f32_f64_e32 v27, v[12:13]
	;; [unrolled: 1-line block ×3, first 2 shown]
	s_wait_alu 0xf1ff
	v_add_co_ci_u32_e64 v1, s0, s7, v9, s0
	v_cvt_f32_f64_e32 v13, v[38:39]
	v_cvt_f32_f64_e32 v14, v[44:45]
	;; [unrolled: 1-line block ×3, first 2 shown]
	global_store_b64 v[18:19], v[16:17], off
	v_add_co_u32 v16, s0, v0, s6
	s_wait_alu 0xf1ff
	v_add_co_ci_u32_e64 v17, s0, s7, v1, s0
	global_store_b64 v[4:5], v[24:25], off
	v_add_co_u32 v4, s0, v16, s6
	s_wait_alu 0xf1ff
	v_add_co_ci_u32_e64 v5, s0, s7, v17, s0
	;; [unrolled: 4-line block ×6, first 2 shown]
	global_store_b64 v[4:5], v[20:21], off
	global_store_b64 v[18:19], v[22:23], off
	;; [unrolled: 1-line block ×5, first 2 shown]
	s_and_b32 exec_lo, exec_lo, vcc_lo
	s_cbranch_execz .LBB0_15
; %bb.14:
	global_load_b64 v[8:9], v[104:105], off offset:104
	ds_load_2addr_b64 v[4:7], v141 offset0:13 offset1:34
	v_mad_co_u64_u32 v[0:1], null, 0xfffff888, s4, v[0:1]
	s_mul_i32 s0, s5, 0xfffff888
	s_wait_alu 0xfffe
	s_sub_co_i32 s0, s0, s4
	s_wait_alu 0xfffe
	s_delay_alu instid0(VALU_DEP_1) | instskip(SKIP_3) | instid1(VALU_DEP_2)
	v_add_nc_u32_e32 v1, s0, v1
	s_wait_loadcnt_dscnt 0x0
	v_mul_f32_e32 v10, v5, v9
	v_mul_f32_e32 v9, v4, v9
	v_fmac_f32_e32 v10, v4, v8
	s_delay_alu instid0(VALU_DEP_2) | instskip(NEXT) | instid1(VALU_DEP_2)
	v_fma_f32 v8, v8, v5, -v9
	v_cvt_f64_f32_e32 v[4:5], v10
	s_delay_alu instid0(VALU_DEP_2) | instskip(NEXT) | instid1(VALU_DEP_2)
	v_cvt_f64_f32_e32 v[8:9], v8
	v_mul_f64_e32 v[4:5], s[2:3], v[4:5]
	s_delay_alu instid0(VALU_DEP_2) | instskip(NEXT) | instid1(VALU_DEP_2)
	v_mul_f64_e32 v[8:9], s[2:3], v[8:9]
	v_cvt_f32_f64_e32 v4, v[4:5]
	s_delay_alu instid0(VALU_DEP_2)
	v_cvt_f32_f64_e32 v5, v[8:9]
	global_store_b64 v[0:1], v[4:5], off
	global_load_b64 v[4:5], v[104:105], off offset:272
	v_add_co_u32 v0, vcc_lo, v0, s6
	s_wait_alu 0xfffd
	v_add_co_ci_u32_e32 v1, vcc_lo, s7, v1, vcc_lo
	s_wait_loadcnt 0x0
	v_mul_f32_e32 v8, v7, v5
	v_mul_f32_e32 v5, v6, v5
	s_delay_alu instid0(VALU_DEP_2) | instskip(NEXT) | instid1(VALU_DEP_2)
	v_fmac_f32_e32 v8, v6, v4
	v_fma_f32 v6, v4, v7, -v5
	s_delay_alu instid0(VALU_DEP_2) | instskip(NEXT) | instid1(VALU_DEP_2)
	v_cvt_f64_f32_e32 v[4:5], v8
	v_cvt_f64_f32_e32 v[6:7], v6
	s_delay_alu instid0(VALU_DEP_2) | instskip(NEXT) | instid1(VALU_DEP_2)
	v_mul_f64_e32 v[4:5], s[2:3], v[4:5]
	v_mul_f64_e32 v[6:7], s[2:3], v[6:7]
	s_delay_alu instid0(VALU_DEP_2) | instskip(NEXT) | instid1(VALU_DEP_2)
	v_cvt_f32_f64_e32 v4, v[4:5]
	v_cvt_f32_f64_e32 v5, v[6:7]
	global_store_b64 v[0:1], v[4:5], off
	global_load_b64 v[8:9], v[104:105], off offset:440
	ds_load_2addr_b64 v[4:7], v141 offset0:55 offset1:76
	v_add_co_u32 v0, vcc_lo, v0, s6
	s_wait_alu 0xfffd
	v_add_co_ci_u32_e32 v1, vcc_lo, s7, v1, vcc_lo
	s_wait_loadcnt_dscnt 0x0
	v_mul_f32_e32 v10, v5, v9
	v_mul_f32_e32 v9, v4, v9
	s_delay_alu instid0(VALU_DEP_2) | instskip(NEXT) | instid1(VALU_DEP_2)
	v_fmac_f32_e32 v10, v4, v8
	v_fma_f32 v8, v8, v5, -v9
	s_delay_alu instid0(VALU_DEP_2) | instskip(NEXT) | instid1(VALU_DEP_2)
	v_cvt_f64_f32_e32 v[4:5], v10
	v_cvt_f64_f32_e32 v[8:9], v8
	s_delay_alu instid0(VALU_DEP_2) | instskip(NEXT) | instid1(VALU_DEP_2)
	v_mul_f64_e32 v[4:5], s[2:3], v[4:5]
	v_mul_f64_e32 v[8:9], s[2:3], v[8:9]
	s_delay_alu instid0(VALU_DEP_2) | instskip(NEXT) | instid1(VALU_DEP_2)
	v_cvt_f32_f64_e32 v4, v[4:5]
	v_cvt_f32_f64_e32 v5, v[8:9]
	global_store_b64 v[0:1], v[4:5], off
	global_load_b64 v[4:5], v[104:105], off offset:608
	v_add_co_u32 v0, vcc_lo, v0, s6
	s_wait_alu 0xfffd
	v_add_co_ci_u32_e32 v1, vcc_lo, s7, v1, vcc_lo
	s_wait_loadcnt 0x0
	v_mul_f32_e32 v8, v7, v5
	v_mul_f32_e32 v5, v6, v5
	s_delay_alu instid0(VALU_DEP_2) | instskip(NEXT) | instid1(VALU_DEP_2)
	v_fmac_f32_e32 v8, v6, v4
	v_fma_f32 v6, v4, v7, -v5
	s_delay_alu instid0(VALU_DEP_2) | instskip(NEXT) | instid1(VALU_DEP_2)
	v_cvt_f64_f32_e32 v[4:5], v8
	v_cvt_f64_f32_e32 v[6:7], v6
	s_delay_alu instid0(VALU_DEP_2) | instskip(NEXT) | instid1(VALU_DEP_2)
	v_mul_f64_e32 v[4:5], s[2:3], v[4:5]
	v_mul_f64_e32 v[6:7], s[2:3], v[6:7]
	s_delay_alu instid0(VALU_DEP_2) | instskip(NEXT) | instid1(VALU_DEP_2)
	v_cvt_f32_f64_e32 v4, v[4:5]
	v_cvt_f32_f64_e32 v5, v[6:7]
	global_store_b64 v[0:1], v[4:5], off
	global_load_b64 v[8:9], v[104:105], off offset:776
	ds_load_2addr_b64 v[4:7], v141 offset0:97 offset1:118
	v_add_co_u32 v0, vcc_lo, v0, s6
	s_wait_alu 0xfffd
	v_add_co_ci_u32_e32 v1, vcc_lo, s7, v1, vcc_lo
	s_wait_loadcnt_dscnt 0x0
	v_mul_f32_e32 v10, v5, v9
	v_mul_f32_e32 v9, v4, v9
	s_delay_alu instid0(VALU_DEP_2) | instskip(NEXT) | instid1(VALU_DEP_2)
	v_fmac_f32_e32 v10, v4, v8
	v_fma_f32 v8, v8, v5, -v9
	s_delay_alu instid0(VALU_DEP_2) | instskip(NEXT) | instid1(VALU_DEP_2)
	v_cvt_f64_f32_e32 v[4:5], v10
	v_cvt_f64_f32_e32 v[8:9], v8
	s_delay_alu instid0(VALU_DEP_2) | instskip(NEXT) | instid1(VALU_DEP_2)
	v_mul_f64_e32 v[4:5], s[2:3], v[4:5]
	v_mul_f64_e32 v[8:9], s[2:3], v[8:9]
	s_delay_alu instid0(VALU_DEP_2) | instskip(NEXT) | instid1(VALU_DEP_2)
	v_cvt_f32_f64_e32 v4, v[4:5]
	v_cvt_f32_f64_e32 v5, v[8:9]
	global_store_b64 v[0:1], v[4:5], off
	global_load_b64 v[4:5], v[104:105], off offset:944
	v_add_co_u32 v0, vcc_lo, v0, s6
	s_wait_alu 0xfffd
	v_add_co_ci_u32_e32 v1, vcc_lo, s7, v1, vcc_lo
	s_wait_loadcnt 0x0
	v_mul_f32_e32 v8, v7, v5
	v_mul_f32_e32 v5, v6, v5
	s_delay_alu instid0(VALU_DEP_2) | instskip(NEXT) | instid1(VALU_DEP_2)
	v_fmac_f32_e32 v8, v6, v4
	v_fma_f32 v6, v4, v7, -v5
	s_delay_alu instid0(VALU_DEP_2) | instskip(NEXT) | instid1(VALU_DEP_2)
	v_cvt_f64_f32_e32 v[4:5], v8
	v_cvt_f64_f32_e32 v[6:7], v6
	s_delay_alu instid0(VALU_DEP_2) | instskip(NEXT) | instid1(VALU_DEP_2)
	v_mul_f64_e32 v[4:5], s[2:3], v[4:5]
	v_mul_f64_e32 v[6:7], s[2:3], v[6:7]
	s_delay_alu instid0(VALU_DEP_2) | instskip(NEXT) | instid1(VALU_DEP_2)
	v_cvt_f32_f64_e32 v4, v[4:5]
	v_cvt_f32_f64_e32 v5, v[6:7]
	global_store_b64 v[0:1], v[4:5], off
	global_load_b64 v[8:9], v[104:105], off offset:1112
	ds_load_2addr_b64 v[4:7], v141 offset0:139 offset1:160
	s_wait_loadcnt_dscnt 0x0
	v_mul_f32_e32 v10, v5, v9
	v_mul_f32_e32 v9, v4, v9
	s_delay_alu instid0(VALU_DEP_2) | instskip(NEXT) | instid1(VALU_DEP_2)
	v_fmac_f32_e32 v10, v4, v8
	v_fma_f32 v8, v8, v5, -v9
	s_delay_alu instid0(VALU_DEP_2) | instskip(NEXT) | instid1(VALU_DEP_2)
	v_cvt_f64_f32_e32 v[4:5], v10
	v_cvt_f64_f32_e32 v[8:9], v8
	s_delay_alu instid0(VALU_DEP_2) | instskip(NEXT) | instid1(VALU_DEP_2)
	v_mul_f64_e32 v[4:5], s[2:3], v[4:5]
	v_mul_f64_e32 v[8:9], s[2:3], v[8:9]
	s_delay_alu instid0(VALU_DEP_2) | instskip(NEXT) | instid1(VALU_DEP_2)
	v_cvt_f32_f64_e32 v4, v[4:5]
	v_cvt_f32_f64_e32 v5, v[8:9]
	v_add_co_u32 v8, vcc_lo, v0, s6
	s_wait_alu 0xfffd
	v_add_co_ci_u32_e32 v9, vcc_lo, s7, v1, vcc_lo
	global_store_b64 v[8:9], v[4:5], off
	global_load_b64 v[0:1], v[104:105], off offset:1280
	s_wait_loadcnt 0x0
	v_mul_f32_e32 v4, v7, v1
	v_mul_f32_e32 v1, v6, v1
	s_delay_alu instid0(VALU_DEP_2) | instskip(NEXT) | instid1(VALU_DEP_2)
	v_fmac_f32_e32 v4, v6, v0
	v_fma_f32 v5, v0, v7, -v1
	v_mad_co_u64_u32 v[6:7], null, s4, v142, 0
	s_delay_alu instid0(VALU_DEP_3) | instskip(NEXT) | instid1(VALU_DEP_3)
	v_cvt_f64_f32_e32 v[0:1], v4
	v_cvt_f64_f32_e32 v[4:5], v5
	s_delay_alu instid0(VALU_DEP_2) | instskip(NEXT) | instid1(VALU_DEP_2)
	v_mul_f64_e32 v[0:1], s[2:3], v[0:1]
	v_mul_f64_e32 v[4:5], s[2:3], v[4:5]
	s_delay_alu instid0(VALU_DEP_2) | instskip(NEXT) | instid1(VALU_DEP_2)
	v_cvt_f32_f64_e32 v0, v[0:1]
	v_cvt_f32_f64_e32 v1, v[4:5]
	v_mov_b32_e32 v4, v7
	s_delay_alu instid0(VALU_DEP_1) | instskip(NEXT) | instid1(VALU_DEP_1)
	v_mad_co_u64_u32 v[4:5], null, s5, v142, v[4:5]
	v_mov_b32_e32 v7, v4
	s_delay_alu instid0(VALU_DEP_1) | instskip(NEXT) | instid1(VALU_DEP_1)
	v_lshlrev_b64_e32 v[4:5], 3, v[6:7]
	v_add_co_u32 v2, vcc_lo, v2, v4
	s_wait_alu 0xfffd
	s_delay_alu instid0(VALU_DEP_2)
	v_add_co_ci_u32_e32 v3, vcc_lo, v3, v5, vcc_lo
	global_store_b64 v[2:3], v[0:1], off
	global_load_b64 v[4:5], v[104:105], off offset:1448
	ds_load_2addr_b64 v[0:3], v141 offset0:181 offset1:202
	s_wait_loadcnt_dscnt 0x0
	v_mul_f32_e32 v6, v1, v5
	v_mul_f32_e32 v5, v0, v5
	s_delay_alu instid0(VALU_DEP_2) | instskip(NEXT) | instid1(VALU_DEP_2)
	v_fmac_f32_e32 v6, v0, v4
	v_fma_f32 v4, v4, v1, -v5
	s_delay_alu instid0(VALU_DEP_2) | instskip(NEXT) | instid1(VALU_DEP_2)
	v_cvt_f64_f32_e32 v[0:1], v6
	v_cvt_f64_f32_e32 v[4:5], v4
	s_delay_alu instid0(VALU_DEP_2) | instskip(NEXT) | instid1(VALU_DEP_2)
	v_mul_f64_e32 v[0:1], s[2:3], v[0:1]
	v_mul_f64_e32 v[4:5], s[2:3], v[4:5]
	s_delay_alu instid0(VALU_DEP_2) | instskip(NEXT) | instid1(VALU_DEP_2)
	v_cvt_f32_f64_e32 v0, v[0:1]
	v_cvt_f32_f64_e32 v1, v[4:5]
	v_mad_co_u64_u32 v[4:5], null, 0x150, s4, v[8:9]
	s_delay_alu instid0(VALU_DEP_1)
	v_mad_co_u64_u32 v[5:6], null, 0x150, s5, v[5:6]
	global_store_b64 v[4:5], v[0:1], off
	global_load_b64 v[0:1], v[104:105], off offset:1616
	v_add_co_u32 v4, vcc_lo, v4, s6
	s_wait_alu 0xfffd
	v_add_co_ci_u32_e32 v5, vcc_lo, s7, v5, vcc_lo
	s_wait_loadcnt 0x0
	v_mul_f32_e32 v6, v3, v1
	v_mul_f32_e32 v1, v2, v1
	s_delay_alu instid0(VALU_DEP_2) | instskip(NEXT) | instid1(VALU_DEP_2)
	v_fmac_f32_e32 v6, v2, v0
	v_fma_f32 v2, v0, v3, -v1
	s_delay_alu instid0(VALU_DEP_2) | instskip(NEXT) | instid1(VALU_DEP_2)
	v_cvt_f64_f32_e32 v[0:1], v6
	v_cvt_f64_f32_e32 v[2:3], v2
	s_delay_alu instid0(VALU_DEP_2) | instskip(NEXT) | instid1(VALU_DEP_2)
	v_mul_f64_e32 v[0:1], s[2:3], v[0:1]
	v_mul_f64_e32 v[2:3], s[2:3], v[2:3]
	s_delay_alu instid0(VALU_DEP_2) | instskip(NEXT) | instid1(VALU_DEP_2)
	v_cvt_f32_f64_e32 v0, v[0:1]
	v_cvt_f32_f64_e32 v1, v[2:3]
	global_store_b64 v[4:5], v[0:1], off
	global_load_b64 v[6:7], v[104:105], off offset:1784
	ds_load_2addr_b64 v[0:3], v141 offset0:223 offset1:244
	v_add_co_u32 v4, vcc_lo, v4, s6
	s_wait_alu 0xfffd
	v_add_co_ci_u32_e32 v5, vcc_lo, s7, v5, vcc_lo
	s_wait_loadcnt_dscnt 0x0
	v_mul_f32_e32 v8, v1, v7
	v_mul_f32_e32 v7, v0, v7
	s_delay_alu instid0(VALU_DEP_2) | instskip(NEXT) | instid1(VALU_DEP_2)
	v_fmac_f32_e32 v8, v0, v6
	v_fma_f32 v6, v6, v1, -v7
	s_delay_alu instid0(VALU_DEP_2) | instskip(NEXT) | instid1(VALU_DEP_2)
	v_cvt_f64_f32_e32 v[0:1], v8
	v_cvt_f64_f32_e32 v[6:7], v6
	s_delay_alu instid0(VALU_DEP_2) | instskip(NEXT) | instid1(VALU_DEP_2)
	v_mul_f64_e32 v[0:1], s[2:3], v[0:1]
	v_mul_f64_e32 v[6:7], s[2:3], v[6:7]
	s_delay_alu instid0(VALU_DEP_2) | instskip(NEXT) | instid1(VALU_DEP_2)
	v_cvt_f32_f64_e32 v0, v[0:1]
	v_cvt_f32_f64_e32 v1, v[6:7]
	global_store_b64 v[4:5], v[0:1], off
	global_load_b64 v[0:1], v[104:105], off offset:1952
	s_wait_loadcnt 0x0
	v_mul_f32_e32 v6, v3, v1
	v_mul_f32_e32 v1, v2, v1
	s_delay_alu instid0(VALU_DEP_2) | instskip(NEXT) | instid1(VALU_DEP_2)
	v_fmac_f32_e32 v6, v2, v0
	v_fma_f32 v2, v0, v3, -v1
	s_delay_alu instid0(VALU_DEP_2) | instskip(NEXT) | instid1(VALU_DEP_2)
	v_cvt_f64_f32_e32 v[0:1], v6
	v_cvt_f64_f32_e32 v[2:3], v2
	s_delay_alu instid0(VALU_DEP_2) | instskip(NEXT) | instid1(VALU_DEP_2)
	v_mul_f64_e32 v[0:1], s[2:3], v[0:1]
	v_mul_f64_e32 v[2:3], s[2:3], v[2:3]
	s_delay_alu instid0(VALU_DEP_2) | instskip(NEXT) | instid1(VALU_DEP_2)
	v_cvt_f32_f64_e32 v0, v[0:1]
	v_cvt_f32_f64_e32 v1, v[2:3]
	v_add_co_u32 v2, vcc_lo, v4, s6
	s_wait_alu 0xfffd
	v_add_co_ci_u32_e32 v3, vcc_lo, s7, v5, vcc_lo
	ds_load_b64 v[4:5], v141 offset:2120
	global_store_b64 v[2:3], v[0:1], off
	global_load_b64 v[0:1], v[104:105], off offset:2120
	v_add_co_u32 v2, vcc_lo, v2, s6
	s_wait_alu 0xfffd
	v_add_co_ci_u32_e32 v3, vcc_lo, s7, v3, vcc_lo
	s_wait_loadcnt_dscnt 0x0
	v_mul_f32_e32 v6, v5, v1
	v_mul_f32_e32 v1, v4, v1
	s_delay_alu instid0(VALU_DEP_2) | instskip(NEXT) | instid1(VALU_DEP_2)
	v_fmac_f32_e32 v6, v4, v0
	v_fma_f32 v4, v0, v5, -v1
	s_delay_alu instid0(VALU_DEP_2) | instskip(NEXT) | instid1(VALU_DEP_2)
	v_cvt_f64_f32_e32 v[0:1], v6
	v_cvt_f64_f32_e32 v[4:5], v4
	s_delay_alu instid0(VALU_DEP_2) | instskip(NEXT) | instid1(VALU_DEP_2)
	v_mul_f64_e32 v[0:1], s[2:3], v[0:1]
	v_mul_f64_e32 v[4:5], s[2:3], v[4:5]
	s_delay_alu instid0(VALU_DEP_2) | instskip(NEXT) | instid1(VALU_DEP_2)
	v_cvt_f32_f64_e32 v0, v[0:1]
	v_cvt_f32_f64_e32 v1, v[4:5]
	global_store_b64 v[2:3], v[0:1], off
.LBB0_15:
	s_nop 0
	s_sendmsg sendmsg(MSG_DEALLOC_VGPRS)
	s_endpgm
	.section	.rodata,"a",@progbits
	.p2align	6, 0x0
	.amdhsa_kernel bluestein_single_back_len273_dim1_sp_op_CI_CI
		.amdhsa_group_segment_fixed_size 8736
		.amdhsa_private_segment_fixed_size 0
		.amdhsa_kernarg_size 104
		.amdhsa_user_sgpr_count 2
		.amdhsa_user_sgpr_dispatch_ptr 0
		.amdhsa_user_sgpr_queue_ptr 0
		.amdhsa_user_sgpr_kernarg_segment_ptr 1
		.amdhsa_user_sgpr_dispatch_id 0
		.amdhsa_user_sgpr_private_segment_size 0
		.amdhsa_wavefront_size32 1
		.amdhsa_uses_dynamic_stack 0
		.amdhsa_enable_private_segment 0
		.amdhsa_system_sgpr_workgroup_id_x 1
		.amdhsa_system_sgpr_workgroup_id_y 0
		.amdhsa_system_sgpr_workgroup_id_z 0
		.amdhsa_system_sgpr_workgroup_info 0
		.amdhsa_system_vgpr_workitem_id 0
		.amdhsa_next_free_vgpr 223
		.amdhsa_next_free_sgpr 16
		.amdhsa_reserve_vcc 1
		.amdhsa_float_round_mode_32 0
		.amdhsa_float_round_mode_16_64 0
		.amdhsa_float_denorm_mode_32 3
		.amdhsa_float_denorm_mode_16_64 3
		.amdhsa_fp16_overflow 0
		.amdhsa_workgroup_processor_mode 1
		.amdhsa_memory_ordered 1
		.amdhsa_forward_progress 0
		.amdhsa_round_robin_scheduling 0
		.amdhsa_exception_fp_ieee_invalid_op 0
		.amdhsa_exception_fp_denorm_src 0
		.amdhsa_exception_fp_ieee_div_zero 0
		.amdhsa_exception_fp_ieee_overflow 0
		.amdhsa_exception_fp_ieee_underflow 0
		.amdhsa_exception_fp_ieee_inexact 0
		.amdhsa_exception_int_div_zero 0
	.end_amdhsa_kernel
	.text
.Lfunc_end0:
	.size	bluestein_single_back_len273_dim1_sp_op_CI_CI, .Lfunc_end0-bluestein_single_back_len273_dim1_sp_op_CI_CI
                                        ; -- End function
	.section	.AMDGPU.csdata,"",@progbits
; Kernel info:
; codeLenInByte = 25984
; NumSgprs: 18
; NumVgprs: 223
; ScratchSize: 0
; MemoryBound: 0
; FloatMode: 240
; IeeeMode: 1
; LDSByteSize: 8736 bytes/workgroup (compile time only)
; SGPRBlocks: 2
; VGPRBlocks: 27
; NumSGPRsForWavesPerEU: 18
; NumVGPRsForWavesPerEU: 223
; Occupancy: 6
; WaveLimiterHint : 1
; COMPUTE_PGM_RSRC2:SCRATCH_EN: 0
; COMPUTE_PGM_RSRC2:USER_SGPR: 2
; COMPUTE_PGM_RSRC2:TRAP_HANDLER: 0
; COMPUTE_PGM_RSRC2:TGID_X_EN: 1
; COMPUTE_PGM_RSRC2:TGID_Y_EN: 0
; COMPUTE_PGM_RSRC2:TGID_Z_EN: 0
; COMPUTE_PGM_RSRC2:TIDIG_COMP_CNT: 0
	.text
	.p2alignl 7, 3214868480
	.fill 96, 4, 3214868480
	.type	__hip_cuid_c86fd020aea134fb,@object ; @__hip_cuid_c86fd020aea134fb
	.section	.bss,"aw",@nobits
	.globl	__hip_cuid_c86fd020aea134fb
__hip_cuid_c86fd020aea134fb:
	.byte	0                               ; 0x0
	.size	__hip_cuid_c86fd020aea134fb, 1

	.ident	"AMD clang version 19.0.0git (https://github.com/RadeonOpenCompute/llvm-project roc-6.4.0 25133 c7fe45cf4b819c5991fe208aaa96edf142730f1d)"
	.section	".note.GNU-stack","",@progbits
	.addrsig
	.addrsig_sym __hip_cuid_c86fd020aea134fb
	.amdgpu_metadata
---
amdhsa.kernels:
  - .args:
      - .actual_access:  read_only
        .address_space:  global
        .offset:         0
        .size:           8
        .value_kind:     global_buffer
      - .actual_access:  read_only
        .address_space:  global
        .offset:         8
        .size:           8
        .value_kind:     global_buffer
      - .actual_access:  read_only
        .address_space:  global
        .offset:         16
        .size:           8
        .value_kind:     global_buffer
      - .actual_access:  read_only
        .address_space:  global
        .offset:         24
        .size:           8
        .value_kind:     global_buffer
      - .actual_access:  read_only
        .address_space:  global
        .offset:         32
        .size:           8
        .value_kind:     global_buffer
      - .offset:         40
        .size:           8
        .value_kind:     by_value
      - .address_space:  global
        .offset:         48
        .size:           8
        .value_kind:     global_buffer
      - .address_space:  global
        .offset:         56
        .size:           8
        .value_kind:     global_buffer
      - .address_space:  global
        .offset:         64
        .size:           8
        .value_kind:     global_buffer
      - .address_space:  global
        .offset:         72
        .size:           8
        .value_kind:     global_buffer
      - .offset:         80
        .size:           4
        .value_kind:     by_value
      - .address_space:  global
        .offset:         88
        .size:           8
        .value_kind:     global_buffer
      - .address_space:  global
        .offset:         96
        .size:           8
        .value_kind:     global_buffer
    .group_segment_fixed_size: 8736
    .kernarg_segment_align: 8
    .kernarg_segment_size: 104
    .language:       OpenCL C
    .language_version:
      - 2
      - 0
    .max_flat_workgroup_size: 52
    .name:           bluestein_single_back_len273_dim1_sp_op_CI_CI
    .private_segment_fixed_size: 0
    .sgpr_count:     18
    .sgpr_spill_count: 0
    .symbol:         bluestein_single_back_len273_dim1_sp_op_CI_CI.kd
    .uniform_work_group_size: 1
    .uses_dynamic_stack: false
    .vgpr_count:     223
    .vgpr_spill_count: 0
    .wavefront_size: 32
    .workgroup_processor_mode: 1
amdhsa.target:   amdgcn-amd-amdhsa--gfx1201
amdhsa.version:
  - 1
  - 2
...

	.end_amdgpu_metadata
